;; amdgpu-corpus repo=zjin-lcf/HeCBench kind=compiled arch=gfx1250 opt=O3
	.amdgcn_target "amdgcn-amd-amdhsa--gfx1250"
	.amdhsa_code_object_version 6
	.section	.text._Z11init_kernelIfEvPT_S1_S1_S0_S0_S0_,"axG",@progbits,_Z11init_kernelIfEvPT_S1_S1_S0_S0_S0_,comdat
	.protected	_Z11init_kernelIfEvPT_S1_S1_S0_S0_S0_ ; -- Begin function _Z11init_kernelIfEvPT_S1_S1_S0_S0_S0_
	.globl	_Z11init_kernelIfEvPT_S1_S1_S0_S0_S0_
	.p2align	8
	.type	_Z11init_kernelIfEvPT_S1_S1_S0_S0_S0_,@function
_Z11init_kernelIfEvPT_S1_S1_S0_S0_S0_:  ; @_Z11init_kernelIfEvPT_S1_S1_S0_S0_S0_
; %bb.0:
	s_clause 0x1
	s_load_b32 s2, s[0:1], 0x34
	s_load_b96 s[8:10], s[0:1], 0x18
	s_bfe_u32 s4, ttmp6, 0x4000c
	s_and_b32 s3, ttmp6, 15
	s_add_co_i32 s12, s4, 1
	s_load_b128 s[4:7], s[0:1], 0x0
	s_mul_i32 s12, ttmp9, s12
	s_wait_xcnt 0x0
	s_load_b64 s[0:1], s[0:1], 0x10
	s_getreg_b32 s11, hwreg(HW_REG_IB_STS2, 6, 4)
	s_add_co_i32 s3, s3, s12
	s_wait_kmcnt 0x0
	s_and_b32 s2, s2, 0xffff
	s_cmp_eq_u32 s11, 0
	v_dual_mov_b32 v1, s8 :: v_dual_mov_b32 v2, s9
	s_cselect_b32 s3, ttmp9, s3
	v_mov_b32_e32 v3, s10
	v_mad_u32 v0, s3, s2, v0
	s_clause 0x2
	global_store_b32 v0, v1, s[4:5] scale_offset
	global_store_b32 v0, v2, s[6:7] scale_offset
	;; [unrolled: 1-line block ×3, first 2 shown]
	s_endpgm
	.section	.rodata,"a",@progbits
	.p2align	6, 0x0
	.amdhsa_kernel _Z11init_kernelIfEvPT_S1_S1_S0_S0_S0_
		.amdhsa_group_segment_fixed_size 0
		.amdhsa_private_segment_fixed_size 0
		.amdhsa_kernarg_size 296
		.amdhsa_user_sgpr_count 2
		.amdhsa_user_sgpr_dispatch_ptr 0
		.amdhsa_user_sgpr_queue_ptr 0
		.amdhsa_user_sgpr_kernarg_segment_ptr 1
		.amdhsa_user_sgpr_dispatch_id 0
		.amdhsa_user_sgpr_kernarg_preload_length 0
		.amdhsa_user_sgpr_kernarg_preload_offset 0
		.amdhsa_user_sgpr_private_segment_size 0
		.amdhsa_wavefront_size32 1
		.amdhsa_uses_dynamic_stack 0
		.amdhsa_enable_private_segment 0
		.amdhsa_system_sgpr_workgroup_id_x 1
		.amdhsa_system_sgpr_workgroup_id_y 0
		.amdhsa_system_sgpr_workgroup_id_z 0
		.amdhsa_system_sgpr_workgroup_info 0
		.amdhsa_system_vgpr_workitem_id 0
		.amdhsa_next_free_vgpr 4
		.amdhsa_next_free_sgpr 13
		.amdhsa_named_barrier_count 0
		.amdhsa_reserve_vcc 0
		.amdhsa_float_round_mode_32 0
		.amdhsa_float_round_mode_16_64 0
		.amdhsa_float_denorm_mode_32 3
		.amdhsa_float_denorm_mode_16_64 3
		.amdhsa_fp16_overflow 0
		.amdhsa_memory_ordered 1
		.amdhsa_forward_progress 1
		.amdhsa_inst_pref_size 2
		.amdhsa_round_robin_scheduling 0
		.amdhsa_exception_fp_ieee_invalid_op 0
		.amdhsa_exception_fp_denorm_src 0
		.amdhsa_exception_fp_ieee_div_zero 0
		.amdhsa_exception_fp_ieee_overflow 0
		.amdhsa_exception_fp_ieee_underflow 0
		.amdhsa_exception_fp_ieee_inexact 0
		.amdhsa_exception_int_div_zero 0
	.end_amdhsa_kernel
	.section	.text._Z11init_kernelIfEvPT_S1_S1_S0_S0_S0_,"axG",@progbits,_Z11init_kernelIfEvPT_S1_S1_S0_S0_S0_,comdat
.Lfunc_end0:
	.size	_Z11init_kernelIfEvPT_S1_S1_S0_S0_S0_, .Lfunc_end0-_Z11init_kernelIfEvPT_S1_S1_S0_S0_S0_
                                        ; -- End function
	.set _Z11init_kernelIfEvPT_S1_S1_S0_S0_S0_.num_vgpr, 4
	.set _Z11init_kernelIfEvPT_S1_S1_S0_S0_S0_.num_agpr, 0
	.set _Z11init_kernelIfEvPT_S1_S1_S0_S0_S0_.numbered_sgpr, 13
	.set _Z11init_kernelIfEvPT_S1_S1_S0_S0_S0_.num_named_barrier, 0
	.set _Z11init_kernelIfEvPT_S1_S1_S0_S0_S0_.private_seg_size, 0
	.set _Z11init_kernelIfEvPT_S1_S1_S0_S0_S0_.uses_vcc, 0
	.set _Z11init_kernelIfEvPT_S1_S1_S0_S0_S0_.uses_flat_scratch, 0
	.set _Z11init_kernelIfEvPT_S1_S1_S0_S0_S0_.has_dyn_sized_stack, 0
	.set _Z11init_kernelIfEvPT_S1_S1_S0_S0_S0_.has_recursion, 0
	.set _Z11init_kernelIfEvPT_S1_S1_S0_S0_S0_.has_indirect_call, 0
	.section	.AMDGPU.csdata,"",@progbits
; Kernel info:
; codeLenInByte = 152
; TotalNumSgprs: 13
; NumVgprs: 4
; ScratchSize: 0
; MemoryBound: 0
; FloatMode: 240
; IeeeMode: 1
; LDSByteSize: 0 bytes/workgroup (compile time only)
; SGPRBlocks: 0
; VGPRBlocks: 0
; NumSGPRsForWavesPerEU: 13
; NumVGPRsForWavesPerEU: 4
; NamedBarCnt: 0
; Occupancy: 16
; WaveLimiterHint : 0
; COMPUTE_PGM_RSRC2:SCRATCH_EN: 0
; COMPUTE_PGM_RSRC2:USER_SGPR: 2
; COMPUTE_PGM_RSRC2:TRAP_HANDLER: 0
; COMPUTE_PGM_RSRC2:TGID_X_EN: 1
; COMPUTE_PGM_RSRC2:TGID_Y_EN: 0
; COMPUTE_PGM_RSRC2:TGID_Z_EN: 0
; COMPUTE_PGM_RSRC2:TIDIG_COMP_CNT: 0
	.section	.text._Z11copy_kernelIfEvPKT_PS0_,"axG",@progbits,_Z11copy_kernelIfEvPKT_PS0_,comdat
	.protected	_Z11copy_kernelIfEvPKT_PS0_ ; -- Begin function _Z11copy_kernelIfEvPKT_PS0_
	.globl	_Z11copy_kernelIfEvPKT_PS0_
	.p2align	8
	.type	_Z11copy_kernelIfEvPKT_PS0_,@function
_Z11copy_kernelIfEvPKT_PS0_:            ; @_Z11copy_kernelIfEvPKT_PS0_
; %bb.0:
	s_clause 0x1
	s_load_b32 s2, s[0:1], 0x1c
	s_load_b128 s[4:7], s[0:1], 0x0
	s_wait_xcnt 0x0
	s_bfe_u32 s0, ttmp6, 0x4000c
	s_and_b32 s1, ttmp6, 15
	s_add_co_i32 s0, s0, 1
	s_getreg_b32 s3, hwreg(HW_REG_IB_STS2, 6, 4)
	s_mul_i32 s0, ttmp9, s0
	s_delay_alu instid0(SALU_CYCLE_1) | instskip(SKIP_4) | instid1(SALU_CYCLE_1)
	s_add_co_i32 s1, s1, s0
	s_wait_kmcnt 0x0
	s_and_b32 s2, s2, 0xffff
	s_cmp_eq_u32 s3, 0
	s_cselect_b32 s0, ttmp9, s1
	v_mad_u32 v0, s0, s2, v0
	global_load_b32 v1, v0, s[4:5] scale_offset
	s_wait_loadcnt 0x0
	global_store_b32 v0, v1, s[6:7] scale_offset
	s_endpgm
	.section	.rodata,"a",@progbits
	.p2align	6, 0x0
	.amdhsa_kernel _Z11copy_kernelIfEvPKT_PS0_
		.amdhsa_group_segment_fixed_size 0
		.amdhsa_private_segment_fixed_size 0
		.amdhsa_kernarg_size 272
		.amdhsa_user_sgpr_count 2
		.amdhsa_user_sgpr_dispatch_ptr 0
		.amdhsa_user_sgpr_queue_ptr 0
		.amdhsa_user_sgpr_kernarg_segment_ptr 1
		.amdhsa_user_sgpr_dispatch_id 0
		.amdhsa_user_sgpr_kernarg_preload_length 0
		.amdhsa_user_sgpr_kernarg_preload_offset 0
		.amdhsa_user_sgpr_private_segment_size 0
		.amdhsa_wavefront_size32 1
		.amdhsa_uses_dynamic_stack 0
		.amdhsa_enable_private_segment 0
		.amdhsa_system_sgpr_workgroup_id_x 1
		.amdhsa_system_sgpr_workgroup_id_y 0
		.amdhsa_system_sgpr_workgroup_id_z 0
		.amdhsa_system_sgpr_workgroup_info 0
		.amdhsa_system_vgpr_workitem_id 0
		.amdhsa_next_free_vgpr 2
		.amdhsa_next_free_sgpr 8
		.amdhsa_named_barrier_count 0
		.amdhsa_reserve_vcc 0
		.amdhsa_float_round_mode_32 0
		.amdhsa_float_round_mode_16_64 0
		.amdhsa_float_denorm_mode_32 3
		.amdhsa_float_denorm_mode_16_64 3
		.amdhsa_fp16_overflow 0
		.amdhsa_memory_ordered 1
		.amdhsa_forward_progress 1
		.amdhsa_inst_pref_size 1
		.amdhsa_round_robin_scheduling 0
		.amdhsa_exception_fp_ieee_invalid_op 0
		.amdhsa_exception_fp_denorm_src 0
		.amdhsa_exception_fp_ieee_div_zero 0
		.amdhsa_exception_fp_ieee_overflow 0
		.amdhsa_exception_fp_ieee_underflow 0
		.amdhsa_exception_fp_ieee_inexact 0
		.amdhsa_exception_int_div_zero 0
	.end_amdhsa_kernel
	.section	.text._Z11copy_kernelIfEvPKT_PS0_,"axG",@progbits,_Z11copy_kernelIfEvPKT_PS0_,comdat
.Lfunc_end1:
	.size	_Z11copy_kernelIfEvPKT_PS0_, .Lfunc_end1-_Z11copy_kernelIfEvPKT_PS0_
                                        ; -- End function
	.set _Z11copy_kernelIfEvPKT_PS0_.num_vgpr, 2
	.set _Z11copy_kernelIfEvPKT_PS0_.num_agpr, 0
	.set _Z11copy_kernelIfEvPKT_PS0_.numbered_sgpr, 8
	.set _Z11copy_kernelIfEvPKT_PS0_.num_named_barrier, 0
	.set _Z11copy_kernelIfEvPKT_PS0_.private_seg_size, 0
	.set _Z11copy_kernelIfEvPKT_PS0_.uses_vcc, 0
	.set _Z11copy_kernelIfEvPKT_PS0_.uses_flat_scratch, 0
	.set _Z11copy_kernelIfEvPKT_PS0_.has_dyn_sized_stack, 0
	.set _Z11copy_kernelIfEvPKT_PS0_.has_recursion, 0
	.set _Z11copy_kernelIfEvPKT_PS0_.has_indirect_call, 0
	.section	.AMDGPU.csdata,"",@progbits
; Kernel info:
; codeLenInByte = 116
; TotalNumSgprs: 8
; NumVgprs: 2
; ScratchSize: 0
; MemoryBound: 0
; FloatMode: 240
; IeeeMode: 1
; LDSByteSize: 0 bytes/workgroup (compile time only)
; SGPRBlocks: 0
; VGPRBlocks: 0
; NumSGPRsForWavesPerEU: 8
; NumVGPRsForWavesPerEU: 2
; NamedBarCnt: 0
; Occupancy: 16
; WaveLimiterHint : 0
; COMPUTE_PGM_RSRC2:SCRATCH_EN: 0
; COMPUTE_PGM_RSRC2:USER_SGPR: 2
; COMPUTE_PGM_RSRC2:TRAP_HANDLER: 0
; COMPUTE_PGM_RSRC2:TGID_X_EN: 1
; COMPUTE_PGM_RSRC2:TGID_Y_EN: 0
; COMPUTE_PGM_RSRC2:TGID_Z_EN: 0
; COMPUTE_PGM_RSRC2:TIDIG_COMP_CNT: 0
	.section	.text._Z10mul_kernelIfEvPT_PKS0_,"axG",@progbits,_Z10mul_kernelIfEvPT_PKS0_,comdat
	.protected	_Z10mul_kernelIfEvPT_PKS0_ ; -- Begin function _Z10mul_kernelIfEvPT_PKS0_
	.globl	_Z10mul_kernelIfEvPT_PKS0_
	.p2align	8
	.type	_Z10mul_kernelIfEvPT_PKS0_,@function
_Z10mul_kernelIfEvPT_PKS0_:             ; @_Z10mul_kernelIfEvPT_PKS0_
; %bb.0:
	s_clause 0x1
	s_load_b32 s2, s[0:1], 0x1c
	s_load_b128 s[4:7], s[0:1], 0x0
	s_wait_xcnt 0x0
	s_bfe_u32 s0, ttmp6, 0x4000c
	s_and_b32 s1, ttmp6, 15
	s_add_co_i32 s0, s0, 1
	s_getreg_b32 s3, hwreg(HW_REG_IB_STS2, 6, 4)
	s_mul_i32 s0, ttmp9, s0
	s_delay_alu instid0(SALU_CYCLE_1) | instskip(SKIP_4) | instid1(SALU_CYCLE_1)
	s_add_co_i32 s1, s1, s0
	s_wait_kmcnt 0x0
	s_and_b32 s2, s2, 0xffff
	s_cmp_eq_u32 s3, 0
	s_cselect_b32 s0, ttmp9, s1
	v_mad_u32 v0, s0, s2, v0
	global_load_b32 v1, v0, s[6:7] scale_offset
	s_wait_loadcnt 0x0
	v_mul_f32_e32 v1, 0x3ecccccd, v1
	global_store_b32 v0, v1, s[4:5] scale_offset
	s_endpgm
	.section	.rodata,"a",@progbits
	.p2align	6, 0x0
	.amdhsa_kernel _Z10mul_kernelIfEvPT_PKS0_
		.amdhsa_group_segment_fixed_size 0
		.amdhsa_private_segment_fixed_size 0
		.amdhsa_kernarg_size 272
		.amdhsa_user_sgpr_count 2
		.amdhsa_user_sgpr_dispatch_ptr 0
		.amdhsa_user_sgpr_queue_ptr 0
		.amdhsa_user_sgpr_kernarg_segment_ptr 1
		.amdhsa_user_sgpr_dispatch_id 0
		.amdhsa_user_sgpr_kernarg_preload_length 0
		.amdhsa_user_sgpr_kernarg_preload_offset 0
		.amdhsa_user_sgpr_private_segment_size 0
		.amdhsa_wavefront_size32 1
		.amdhsa_uses_dynamic_stack 0
		.amdhsa_enable_private_segment 0
		.amdhsa_system_sgpr_workgroup_id_x 1
		.amdhsa_system_sgpr_workgroup_id_y 0
		.amdhsa_system_sgpr_workgroup_id_z 0
		.amdhsa_system_sgpr_workgroup_info 0
		.amdhsa_system_vgpr_workitem_id 0
		.amdhsa_next_free_vgpr 2
		.amdhsa_next_free_sgpr 8
		.amdhsa_named_barrier_count 0
		.amdhsa_reserve_vcc 0
		.amdhsa_float_round_mode_32 0
		.amdhsa_float_round_mode_16_64 0
		.amdhsa_float_denorm_mode_32 3
		.amdhsa_float_denorm_mode_16_64 3
		.amdhsa_fp16_overflow 0
		.amdhsa_memory_ordered 1
		.amdhsa_forward_progress 1
		.amdhsa_inst_pref_size 1
		.amdhsa_round_robin_scheduling 0
		.amdhsa_exception_fp_ieee_invalid_op 0
		.amdhsa_exception_fp_denorm_src 0
		.amdhsa_exception_fp_ieee_div_zero 0
		.amdhsa_exception_fp_ieee_overflow 0
		.amdhsa_exception_fp_ieee_underflow 0
		.amdhsa_exception_fp_ieee_inexact 0
		.amdhsa_exception_int_div_zero 0
	.end_amdhsa_kernel
	.section	.text._Z10mul_kernelIfEvPT_PKS0_,"axG",@progbits,_Z10mul_kernelIfEvPT_PKS0_,comdat
.Lfunc_end2:
	.size	_Z10mul_kernelIfEvPT_PKS0_, .Lfunc_end2-_Z10mul_kernelIfEvPT_PKS0_
                                        ; -- End function
	.set _Z10mul_kernelIfEvPT_PKS0_.num_vgpr, 2
	.set _Z10mul_kernelIfEvPT_PKS0_.num_agpr, 0
	.set _Z10mul_kernelIfEvPT_PKS0_.numbered_sgpr, 8
	.set _Z10mul_kernelIfEvPT_PKS0_.num_named_barrier, 0
	.set _Z10mul_kernelIfEvPT_PKS0_.private_seg_size, 0
	.set _Z10mul_kernelIfEvPT_PKS0_.uses_vcc, 0
	.set _Z10mul_kernelIfEvPT_PKS0_.uses_flat_scratch, 0
	.set _Z10mul_kernelIfEvPT_PKS0_.has_dyn_sized_stack, 0
	.set _Z10mul_kernelIfEvPT_PKS0_.has_recursion, 0
	.set _Z10mul_kernelIfEvPT_PKS0_.has_indirect_call, 0
	.section	.AMDGPU.csdata,"",@progbits
; Kernel info:
; codeLenInByte = 124
; TotalNumSgprs: 8
; NumVgprs: 2
; ScratchSize: 0
; MemoryBound: 0
; FloatMode: 240
; IeeeMode: 1
; LDSByteSize: 0 bytes/workgroup (compile time only)
; SGPRBlocks: 0
; VGPRBlocks: 0
; NumSGPRsForWavesPerEU: 8
; NumVGPRsForWavesPerEU: 2
; NamedBarCnt: 0
; Occupancy: 16
; WaveLimiterHint : 0
; COMPUTE_PGM_RSRC2:SCRATCH_EN: 0
; COMPUTE_PGM_RSRC2:USER_SGPR: 2
; COMPUTE_PGM_RSRC2:TRAP_HANDLER: 0
; COMPUTE_PGM_RSRC2:TGID_X_EN: 1
; COMPUTE_PGM_RSRC2:TGID_Y_EN: 0
; COMPUTE_PGM_RSRC2:TGID_Z_EN: 0
; COMPUTE_PGM_RSRC2:TIDIG_COMP_CNT: 0
	.section	.text._Z10add_kernelIfEvPKT_S2_PS0_,"axG",@progbits,_Z10add_kernelIfEvPKT_S2_PS0_,comdat
	.protected	_Z10add_kernelIfEvPKT_S2_PS0_ ; -- Begin function _Z10add_kernelIfEvPKT_S2_PS0_
	.globl	_Z10add_kernelIfEvPKT_S2_PS0_
	.p2align	8
	.type	_Z10add_kernelIfEvPKT_S2_PS0_,@function
_Z10add_kernelIfEvPKT_S2_PS0_:          ; @_Z10add_kernelIfEvPKT_S2_PS0_
; %bb.0:
	s_clause 0x1
	s_load_b32 s2, s[0:1], 0x24
	s_load_b128 s[4:7], s[0:1], 0x0
	s_bfe_u32 s3, ttmp6, 0x4000c
	s_and_b32 s8, ttmp6, 15
	s_add_co_i32 s3, s3, 1
	s_getreg_b32 s9, hwreg(HW_REG_IB_STS2, 6, 4)
	s_mul_i32 s3, ttmp9, s3
	s_wait_xcnt 0x0
	s_load_b64 s[0:1], s[0:1], 0x10
	s_add_co_i32 s8, s8, s3
	s_wait_kmcnt 0x0
	s_and_b32 s2, s2, 0xffff
	s_cmp_eq_u32 s9, 0
	s_cselect_b32 s3, ttmp9, s8
	s_delay_alu instid0(SALU_CYCLE_1)
	v_mad_u32 v0, s3, s2, v0
	s_clause 0x1
	global_load_b32 v1, v0, s[4:5] scale_offset
	global_load_b32 v2, v0, s[6:7] scale_offset
	s_wait_loadcnt 0x0
	v_add_f32_e32 v1, v1, v2
	global_store_b32 v0, v1, s[0:1] scale_offset
	s_endpgm
	.section	.rodata,"a",@progbits
	.p2align	6, 0x0
	.amdhsa_kernel _Z10add_kernelIfEvPKT_S2_PS0_
		.amdhsa_group_segment_fixed_size 0
		.amdhsa_private_segment_fixed_size 0
		.amdhsa_kernarg_size 280
		.amdhsa_user_sgpr_count 2
		.amdhsa_user_sgpr_dispatch_ptr 0
		.amdhsa_user_sgpr_queue_ptr 0
		.amdhsa_user_sgpr_kernarg_segment_ptr 1
		.amdhsa_user_sgpr_dispatch_id 0
		.amdhsa_user_sgpr_kernarg_preload_length 0
		.amdhsa_user_sgpr_kernarg_preload_offset 0
		.amdhsa_user_sgpr_private_segment_size 0
		.amdhsa_wavefront_size32 1
		.amdhsa_uses_dynamic_stack 0
		.amdhsa_enable_private_segment 0
		.amdhsa_system_sgpr_workgroup_id_x 1
		.amdhsa_system_sgpr_workgroup_id_y 0
		.amdhsa_system_sgpr_workgroup_id_z 0
		.amdhsa_system_sgpr_workgroup_info 0
		.amdhsa_system_vgpr_workitem_id 0
		.amdhsa_next_free_vgpr 3
		.amdhsa_next_free_sgpr 10
		.amdhsa_named_barrier_count 0
		.amdhsa_reserve_vcc 0
		.amdhsa_float_round_mode_32 0
		.amdhsa_float_round_mode_16_64 0
		.amdhsa_float_denorm_mode_32 3
		.amdhsa_float_denorm_mode_16_64 3
		.amdhsa_fp16_overflow 0
		.amdhsa_memory_ordered 1
		.amdhsa_forward_progress 1
		.amdhsa_inst_pref_size 2
		.amdhsa_round_robin_scheduling 0
		.amdhsa_exception_fp_ieee_invalid_op 0
		.amdhsa_exception_fp_denorm_src 0
		.amdhsa_exception_fp_ieee_div_zero 0
		.amdhsa_exception_fp_ieee_overflow 0
		.amdhsa_exception_fp_ieee_underflow 0
		.amdhsa_exception_fp_ieee_inexact 0
		.amdhsa_exception_int_div_zero 0
	.end_amdhsa_kernel
	.section	.text._Z10add_kernelIfEvPKT_S2_PS0_,"axG",@progbits,_Z10add_kernelIfEvPKT_S2_PS0_,comdat
.Lfunc_end3:
	.size	_Z10add_kernelIfEvPKT_S2_PS0_, .Lfunc_end3-_Z10add_kernelIfEvPKT_S2_PS0_
                                        ; -- End function
	.set _Z10add_kernelIfEvPKT_S2_PS0_.num_vgpr, 3
	.set _Z10add_kernelIfEvPKT_S2_PS0_.num_agpr, 0
	.set _Z10add_kernelIfEvPKT_S2_PS0_.numbered_sgpr, 10
	.set _Z10add_kernelIfEvPKT_S2_PS0_.num_named_barrier, 0
	.set _Z10add_kernelIfEvPKT_S2_PS0_.private_seg_size, 0
	.set _Z10add_kernelIfEvPKT_S2_PS0_.uses_vcc, 0
	.set _Z10add_kernelIfEvPKT_S2_PS0_.uses_flat_scratch, 0
	.set _Z10add_kernelIfEvPKT_S2_PS0_.has_dyn_sized_stack, 0
	.set _Z10add_kernelIfEvPKT_S2_PS0_.has_recursion, 0
	.set _Z10add_kernelIfEvPKT_S2_PS0_.has_indirect_call, 0
	.section	.AMDGPU.csdata,"",@progbits
; Kernel info:
; codeLenInByte = 144
; TotalNumSgprs: 10
; NumVgprs: 3
; ScratchSize: 0
; MemoryBound: 0
; FloatMode: 240
; IeeeMode: 1
; LDSByteSize: 0 bytes/workgroup (compile time only)
; SGPRBlocks: 0
; VGPRBlocks: 0
; NumSGPRsForWavesPerEU: 10
; NumVGPRsForWavesPerEU: 3
; NamedBarCnt: 0
; Occupancy: 16
; WaveLimiterHint : 0
; COMPUTE_PGM_RSRC2:SCRATCH_EN: 0
; COMPUTE_PGM_RSRC2:USER_SGPR: 2
; COMPUTE_PGM_RSRC2:TRAP_HANDLER: 0
; COMPUTE_PGM_RSRC2:TGID_X_EN: 1
; COMPUTE_PGM_RSRC2:TGID_Y_EN: 0
; COMPUTE_PGM_RSRC2:TGID_Z_EN: 0
; COMPUTE_PGM_RSRC2:TIDIG_COMP_CNT: 0
	.section	.text._Z12triad_kernelIfEvPT_PKS0_S3_,"axG",@progbits,_Z12triad_kernelIfEvPT_PKS0_S3_,comdat
	.protected	_Z12triad_kernelIfEvPT_PKS0_S3_ ; -- Begin function _Z12triad_kernelIfEvPT_PKS0_S3_
	.globl	_Z12triad_kernelIfEvPT_PKS0_S3_
	.p2align	8
	.type	_Z12triad_kernelIfEvPT_PKS0_S3_,@function
_Z12triad_kernelIfEvPT_PKS0_S3_:        ; @_Z12triad_kernelIfEvPT_PKS0_S3_
; %bb.0:
	s_load_b32 s8, s[0:1], 0x24
	s_bfe_u32 s2, ttmp6, 0x4000c
	s_and_b32 s9, ttmp6, 15
	s_add_co_i32 s10, s2, 1
	s_clause 0x1
	s_load_b128 s[4:7], s[0:1], 0x0
	s_load_b64 s[2:3], s[0:1], 0x10
	s_wait_xcnt 0x0
	s_mul_i32 s0, ttmp9, s10
	s_getreg_b32 s1, hwreg(HW_REG_IB_STS2, 6, 4)
	s_add_co_i32 s9, s9, s0
	s_wait_kmcnt 0x0
	s_and_b32 s0, s8, 0xffff
	s_cmp_eq_u32 s1, 0
	s_cselect_b32 s1, ttmp9, s9
	s_delay_alu instid0(SALU_CYCLE_1)
	v_mad_u32 v0, s1, s0, v0
	s_clause 0x1
	global_load_b32 v1, v0, s[6:7] scale_offset
	global_load_b32 v2, v0, s[2:3] scale_offset
	s_wait_loadcnt 0x0
	v_fmamk_f32 v1, v2, 0x3ecccccd, v1
	global_store_b32 v0, v1, s[4:5] scale_offset
	s_endpgm
	.section	.rodata,"a",@progbits
	.p2align	6, 0x0
	.amdhsa_kernel _Z12triad_kernelIfEvPT_PKS0_S3_
		.amdhsa_group_segment_fixed_size 0
		.amdhsa_private_segment_fixed_size 0
		.amdhsa_kernarg_size 280
		.amdhsa_user_sgpr_count 2
		.amdhsa_user_sgpr_dispatch_ptr 0
		.amdhsa_user_sgpr_queue_ptr 0
		.amdhsa_user_sgpr_kernarg_segment_ptr 1
		.amdhsa_user_sgpr_dispatch_id 0
		.amdhsa_user_sgpr_kernarg_preload_length 0
		.amdhsa_user_sgpr_kernarg_preload_offset 0
		.amdhsa_user_sgpr_private_segment_size 0
		.amdhsa_wavefront_size32 1
		.amdhsa_uses_dynamic_stack 0
		.amdhsa_enable_private_segment 0
		.amdhsa_system_sgpr_workgroup_id_x 1
		.amdhsa_system_sgpr_workgroup_id_y 0
		.amdhsa_system_sgpr_workgroup_id_z 0
		.amdhsa_system_sgpr_workgroup_info 0
		.amdhsa_system_vgpr_workitem_id 0
		.amdhsa_next_free_vgpr 3
		.amdhsa_next_free_sgpr 11
		.amdhsa_named_barrier_count 0
		.amdhsa_reserve_vcc 0
		.amdhsa_float_round_mode_32 0
		.amdhsa_float_round_mode_16_64 0
		.amdhsa_float_denorm_mode_32 3
		.amdhsa_float_denorm_mode_16_64 3
		.amdhsa_fp16_overflow 0
		.amdhsa_memory_ordered 1
		.amdhsa_forward_progress 1
		.amdhsa_inst_pref_size 2
		.amdhsa_round_robin_scheduling 0
		.amdhsa_exception_fp_ieee_invalid_op 0
		.amdhsa_exception_fp_denorm_src 0
		.amdhsa_exception_fp_ieee_div_zero 0
		.amdhsa_exception_fp_ieee_overflow 0
		.amdhsa_exception_fp_ieee_underflow 0
		.amdhsa_exception_fp_ieee_inexact 0
		.amdhsa_exception_int_div_zero 0
	.end_amdhsa_kernel
	.section	.text._Z12triad_kernelIfEvPT_PKS0_S3_,"axG",@progbits,_Z12triad_kernelIfEvPT_PKS0_S3_,comdat
.Lfunc_end4:
	.size	_Z12triad_kernelIfEvPT_PKS0_S3_, .Lfunc_end4-_Z12triad_kernelIfEvPT_PKS0_S3_
                                        ; -- End function
	.set _Z12triad_kernelIfEvPT_PKS0_S3_.num_vgpr, 3
	.set _Z12triad_kernelIfEvPT_PKS0_S3_.num_agpr, 0
	.set _Z12triad_kernelIfEvPT_PKS0_S3_.numbered_sgpr, 11
	.set _Z12triad_kernelIfEvPT_PKS0_S3_.num_named_barrier, 0
	.set _Z12triad_kernelIfEvPT_PKS0_S3_.private_seg_size, 0
	.set _Z12triad_kernelIfEvPT_PKS0_S3_.uses_vcc, 0
	.set _Z12triad_kernelIfEvPT_PKS0_S3_.uses_flat_scratch, 0
	.set _Z12triad_kernelIfEvPT_PKS0_S3_.has_dyn_sized_stack, 0
	.set _Z12triad_kernelIfEvPT_PKS0_S3_.has_recursion, 0
	.set _Z12triad_kernelIfEvPT_PKS0_S3_.has_indirect_call, 0
	.section	.AMDGPU.csdata,"",@progbits
; Kernel info:
; codeLenInByte = 148
; TotalNumSgprs: 11
; NumVgprs: 3
; ScratchSize: 0
; MemoryBound: 0
; FloatMode: 240
; IeeeMode: 1
; LDSByteSize: 0 bytes/workgroup (compile time only)
; SGPRBlocks: 0
; VGPRBlocks: 0
; NumSGPRsForWavesPerEU: 11
; NumVGPRsForWavesPerEU: 3
; NamedBarCnt: 0
; Occupancy: 16
; WaveLimiterHint : 0
; COMPUTE_PGM_RSRC2:SCRATCH_EN: 0
; COMPUTE_PGM_RSRC2:USER_SGPR: 2
; COMPUTE_PGM_RSRC2:TRAP_HANDLER: 0
; COMPUTE_PGM_RSRC2:TGID_X_EN: 1
; COMPUTE_PGM_RSRC2:TGID_Y_EN: 0
; COMPUTE_PGM_RSRC2:TGID_Z_EN: 0
; COMPUTE_PGM_RSRC2:TIDIG_COMP_CNT: 0
	.section	.text._Z10dot_kernelIfEvPKT_S2_PS0_i,"axG",@progbits,_Z10dot_kernelIfEvPKT_S2_PS0_i,comdat
	.protected	_Z10dot_kernelIfEvPKT_S2_PS0_i ; -- Begin function _Z10dot_kernelIfEvPKT_S2_PS0_i
	.globl	_Z10dot_kernelIfEvPKT_S2_PS0_i
	.p2align	8
	.type	_Z10dot_kernelIfEvPKT_S2_PS0_i,@function
_Z10dot_kernelIfEvPKT_S2_PS0_i:         ; @_Z10dot_kernelIfEvPKT_S2_PS0_i
; %bb.0:
	s_clause 0x1
	s_load_b32 s3, s[0:1], 0x2c
	s_load_b96 s[8:10], s[0:1], 0x10
	s_bfe_u32 s2, ttmp6, 0x4000c
	s_and_b32 s4, ttmp6, 15
	s_add_co_i32 s2, s2, 1
	s_getreg_b32 s5, hwreg(HW_REG_IB_STS2, 6, 4)
	s_mul_i32 s2, ttmp9, s2
	v_dual_mov_b32 v2, 0 :: v_dual_lshlrev_b32 v1, 2, v0
	s_add_co_i32 s4, s4, s2
	s_cmp_eq_u32 s5, 0
	s_mov_b32 s12, 0
	s_cselect_b32 s2, ttmp9, s4
	s_mov_b32 s11, exec_lo
	ds_store_b32 v1, v2
	s_wait_kmcnt 0x0
	s_and_b32 s3, s3, 0xffff
	s_delay_alu instid0(SALU_CYCLE_1) | instskip(NEXT) | instid1(VALU_DEP_1)
	v_mad_u32 v3, s2, s3, v0
	v_cmpx_gt_i32_e64 s10, v3
	s_cbranch_execz .LBB5_4
; %bb.1:
	s_add_nc_u64 s[14:15], s[0:1], 32
	s_load_b32 s13, s[14:15], 0x0
	s_load_b128 s[4:7], s[0:1], 0x0
	s_wait_kmcnt 0x0
	s_mul_i32 s0, s13, s3
.LBB5_2:                                ; =>This Inner Loop Header: Depth=1
	s_clause 0x1
	global_load_b32 v4, v3, s[4:5] scale_offset
	global_load_b32 v5, v3, s[6:7] scale_offset
	s_wait_loadcnt 0x0
	v_dual_fmac_f32 v2, v4, v5 :: v_dual_add_nc_u32 v3, s0, v3
	s_delay_alu instid0(VALU_DEP_1) | instskip(SKIP_1) | instid1(SALU_CYCLE_1)
	v_cmp_le_i32_e32 vcc_lo, s10, v3
	s_or_b32 s12, vcc_lo, s12
	s_and_not1_b32 exec_lo, exec_lo, s12
	s_cbranch_execnz .LBB5_2
; %bb.3:
	s_or_b32 exec_lo, exec_lo, s12
	ds_store_b32 v1, v2
.LBB5_4:
	s_or_b32 exec_lo, exec_lo, s11
	s_cmp_lt_u32 s3, 2
	s_cbranch_scc0 .LBB5_9
.LBB5_5:
	s_mov_b32 s0, exec_lo
	v_cmpx_eq_u32_e32 0, v0
	s_cbranch_execz .LBB5_7
; %bb.6:
	ds_load_b32 v0, v1
	v_mov_b32_e32 v1, s2
	s_wait_dscnt 0x0
	global_store_b32 v1, v0, s[8:9] scale_offset
.LBB5_7:
	s_endpgm
.LBB5_8:                                ;   in Loop: Header=BB5_9 Depth=1
	s_or_b32 exec_lo, exec_lo, s1
	s_cmp_lt_u32 s3, 4
	s_mov_b32 s3, s0
	s_cbranch_scc1 .LBB5_5
.LBB5_9:                                ; =>This Inner Loop Header: Depth=1
	s_lshr_b32 s0, s3, 1
	s_mov_b32 s1, exec_lo
	s_wait_dscnt 0x0
	s_barrier_signal -1
	s_barrier_wait -1
	v_cmpx_gt_u32_e64 s0, v0
	s_cbranch_execz .LBB5_8
; %bb.10:                               ;   in Loop: Header=BB5_9 Depth=1
	v_lshl_add_u32 v2, s0, 2, v1
	ds_load_b32 v2, v2
	ds_load_b32 v3, v1
	s_wait_dscnt 0x0
	v_add_f32_e32 v2, v2, v3
	ds_store_b32 v1, v2
	s_branch .LBB5_8
	.section	.rodata,"a",@progbits
	.p2align	6, 0x0
	.amdhsa_kernel _Z10dot_kernelIfEvPKT_S2_PS0_i
		.amdhsa_group_segment_fixed_size 1024
		.amdhsa_private_segment_fixed_size 0
		.amdhsa_kernarg_size 288
		.amdhsa_user_sgpr_count 2
		.amdhsa_user_sgpr_dispatch_ptr 0
		.amdhsa_user_sgpr_queue_ptr 0
		.amdhsa_user_sgpr_kernarg_segment_ptr 1
		.amdhsa_user_sgpr_dispatch_id 0
		.amdhsa_user_sgpr_kernarg_preload_length 0
		.amdhsa_user_sgpr_kernarg_preload_offset 0
		.amdhsa_user_sgpr_private_segment_size 0
		.amdhsa_wavefront_size32 1
		.amdhsa_uses_dynamic_stack 0
		.amdhsa_enable_private_segment 0
		.amdhsa_system_sgpr_workgroup_id_x 1
		.amdhsa_system_sgpr_workgroup_id_y 0
		.amdhsa_system_sgpr_workgroup_id_z 0
		.amdhsa_system_sgpr_workgroup_info 0
		.amdhsa_system_vgpr_workitem_id 0
		.amdhsa_next_free_vgpr 6
		.amdhsa_next_free_sgpr 16
		.amdhsa_named_barrier_count 0
		.amdhsa_reserve_vcc 1
		.amdhsa_float_round_mode_32 0
		.amdhsa_float_round_mode_16_64 0
		.amdhsa_float_denorm_mode_32 3
		.amdhsa_float_denorm_mode_16_64 3
		.amdhsa_fp16_overflow 0
		.amdhsa_memory_ordered 1
		.amdhsa_forward_progress 1
		.amdhsa_inst_pref_size 3
		.amdhsa_round_robin_scheduling 0
		.amdhsa_exception_fp_ieee_invalid_op 0
		.amdhsa_exception_fp_denorm_src 0
		.amdhsa_exception_fp_ieee_div_zero 0
		.amdhsa_exception_fp_ieee_overflow 0
		.amdhsa_exception_fp_ieee_underflow 0
		.amdhsa_exception_fp_ieee_inexact 0
		.amdhsa_exception_int_div_zero 0
	.end_amdhsa_kernel
	.section	.text._Z10dot_kernelIfEvPKT_S2_PS0_i,"axG",@progbits,_Z10dot_kernelIfEvPKT_S2_PS0_i,comdat
.Lfunc_end5:
	.size	_Z10dot_kernelIfEvPKT_S2_PS0_i, .Lfunc_end5-_Z10dot_kernelIfEvPKT_S2_PS0_i
                                        ; -- End function
	.set _Z10dot_kernelIfEvPKT_S2_PS0_i.num_vgpr, 6
	.set _Z10dot_kernelIfEvPKT_S2_PS0_i.num_agpr, 0
	.set _Z10dot_kernelIfEvPKT_S2_PS0_i.numbered_sgpr, 16
	.set _Z10dot_kernelIfEvPKT_S2_PS0_i.num_named_barrier, 0
	.set _Z10dot_kernelIfEvPKT_S2_PS0_i.private_seg_size, 0
	.set _Z10dot_kernelIfEvPKT_S2_PS0_i.uses_vcc, 1
	.set _Z10dot_kernelIfEvPKT_S2_PS0_i.uses_flat_scratch, 0
	.set _Z10dot_kernelIfEvPKT_S2_PS0_i.has_dyn_sized_stack, 0
	.set _Z10dot_kernelIfEvPKT_S2_PS0_i.has_recursion, 0
	.set _Z10dot_kernelIfEvPKT_S2_PS0_i.has_indirect_call, 0
	.section	.AMDGPU.csdata,"",@progbits
; Kernel info:
; codeLenInByte = 364
; TotalNumSgprs: 18
; NumVgprs: 6
; ScratchSize: 0
; MemoryBound: 0
; FloatMode: 240
; IeeeMode: 1
; LDSByteSize: 1024 bytes/workgroup (compile time only)
; SGPRBlocks: 0
; VGPRBlocks: 0
; NumSGPRsForWavesPerEU: 18
; NumVGPRsForWavesPerEU: 6
; NamedBarCnt: 0
; Occupancy: 16
; WaveLimiterHint : 0
; COMPUTE_PGM_RSRC2:SCRATCH_EN: 0
; COMPUTE_PGM_RSRC2:USER_SGPR: 2
; COMPUTE_PGM_RSRC2:TRAP_HANDLER: 0
; COMPUTE_PGM_RSRC2:TGID_X_EN: 1
; COMPUTE_PGM_RSRC2:TGID_Y_EN: 0
; COMPUTE_PGM_RSRC2:TGID_Z_EN: 0
; COMPUTE_PGM_RSRC2:TIDIG_COMP_CNT: 0
	.section	.text._Z14nstream_kernelIfEvPT_PKS0_S3_,"axG",@progbits,_Z14nstream_kernelIfEvPT_PKS0_S3_,comdat
	.protected	_Z14nstream_kernelIfEvPT_PKS0_S3_ ; -- Begin function _Z14nstream_kernelIfEvPT_PKS0_S3_
	.globl	_Z14nstream_kernelIfEvPT_PKS0_S3_
	.p2align	8
	.type	_Z14nstream_kernelIfEvPT_PKS0_S3_,@function
_Z14nstream_kernelIfEvPT_PKS0_S3_:      ; @_Z14nstream_kernelIfEvPT_PKS0_S3_
; %bb.0:
	s_load_b32 s2, s[0:1], 0x24
	s_bfe_u32 s4, ttmp6, 0x4000c
	s_and_b32 s3, ttmp6, 15
	s_add_co_i32 s9, s4, 1
	s_load_b128 s[4:7], s[0:1], 0x0
	s_mul_i32 s9, ttmp9, s9
	s_wait_xcnt 0x0
	s_load_b64 s[0:1], s[0:1], 0x10
	s_getreg_b32 s8, hwreg(HW_REG_IB_STS2, 6, 4)
	s_add_co_i32 s3, s3, s9
	s_wait_kmcnt 0x0
	s_and_b32 s2, s2, 0xffff
	s_cmp_eq_u32 s8, 0
	s_cselect_b32 s3, ttmp9, s3
	s_delay_alu instid0(SALU_CYCLE_1)
	v_mad_u32 v0, s3, s2, v0
	s_clause 0x2
	global_load_b32 v1, v0, s[6:7] scale_offset
	global_load_b32 v2, v0, s[4:5] scale_offset
	;; [unrolled: 1-line block ×3, first 2 shown]
	s_wait_loadcnt 0x0
	v_fmamk_f32 v1, v3, 0x3ecccccd, v1
	s_delay_alu instid0(VALU_DEP_1)
	v_add_f32_e32 v1, v2, v1
	global_store_b32 v0, v1, s[4:5] scale_offset
	s_endpgm
	.section	.rodata,"a",@progbits
	.p2align	6, 0x0
	.amdhsa_kernel _Z14nstream_kernelIfEvPT_PKS0_S3_
		.amdhsa_group_segment_fixed_size 0
		.amdhsa_private_segment_fixed_size 0
		.amdhsa_kernarg_size 280
		.amdhsa_user_sgpr_count 2
		.amdhsa_user_sgpr_dispatch_ptr 0
		.amdhsa_user_sgpr_queue_ptr 0
		.amdhsa_user_sgpr_kernarg_segment_ptr 1
		.amdhsa_user_sgpr_dispatch_id 0
		.amdhsa_user_sgpr_kernarg_preload_length 0
		.amdhsa_user_sgpr_kernarg_preload_offset 0
		.amdhsa_user_sgpr_private_segment_size 0
		.amdhsa_wavefront_size32 1
		.amdhsa_uses_dynamic_stack 0
		.amdhsa_enable_private_segment 0
		.amdhsa_system_sgpr_workgroup_id_x 1
		.amdhsa_system_sgpr_workgroup_id_y 0
		.amdhsa_system_sgpr_workgroup_id_z 0
		.amdhsa_system_sgpr_workgroup_info 0
		.amdhsa_system_vgpr_workitem_id 0
		.amdhsa_next_free_vgpr 4
		.amdhsa_next_free_sgpr 10
		.amdhsa_named_barrier_count 0
		.amdhsa_reserve_vcc 0
		.amdhsa_float_round_mode_32 0
		.amdhsa_float_round_mode_16_64 0
		.amdhsa_float_denorm_mode_32 3
		.amdhsa_float_denorm_mode_16_64 3
		.amdhsa_fp16_overflow 0
		.amdhsa_memory_ordered 1
		.amdhsa_forward_progress 1
		.amdhsa_inst_pref_size 2
		.amdhsa_round_robin_scheduling 0
		.amdhsa_exception_fp_ieee_invalid_op 0
		.amdhsa_exception_fp_denorm_src 0
		.amdhsa_exception_fp_ieee_div_zero 0
		.amdhsa_exception_fp_ieee_overflow 0
		.amdhsa_exception_fp_ieee_underflow 0
		.amdhsa_exception_fp_ieee_inexact 0
		.amdhsa_exception_int_div_zero 0
	.end_amdhsa_kernel
	.section	.text._Z14nstream_kernelIfEvPT_PKS0_S3_,"axG",@progbits,_Z14nstream_kernelIfEvPT_PKS0_S3_,comdat
.Lfunc_end6:
	.size	_Z14nstream_kernelIfEvPT_PKS0_S3_, .Lfunc_end6-_Z14nstream_kernelIfEvPT_PKS0_S3_
                                        ; -- End function
	.set _Z14nstream_kernelIfEvPT_PKS0_S3_.num_vgpr, 4
	.set _Z14nstream_kernelIfEvPT_PKS0_S3_.num_agpr, 0
	.set _Z14nstream_kernelIfEvPT_PKS0_S3_.numbered_sgpr, 10
	.set _Z14nstream_kernelIfEvPT_PKS0_S3_.num_named_barrier, 0
	.set _Z14nstream_kernelIfEvPT_PKS0_S3_.private_seg_size, 0
	.set _Z14nstream_kernelIfEvPT_PKS0_S3_.uses_vcc, 0
	.set _Z14nstream_kernelIfEvPT_PKS0_S3_.uses_flat_scratch, 0
	.set _Z14nstream_kernelIfEvPT_PKS0_S3_.has_dyn_sized_stack, 0
	.set _Z14nstream_kernelIfEvPT_PKS0_S3_.has_recursion, 0
	.set _Z14nstream_kernelIfEvPT_PKS0_S3_.has_indirect_call, 0
	.section	.AMDGPU.csdata,"",@progbits
; Kernel info:
; codeLenInByte = 164
; TotalNumSgprs: 10
; NumVgprs: 4
; ScratchSize: 0
; MemoryBound: 0
; FloatMode: 240
; IeeeMode: 1
; LDSByteSize: 0 bytes/workgroup (compile time only)
; SGPRBlocks: 0
; VGPRBlocks: 0
; NumSGPRsForWavesPerEU: 10
; NumVGPRsForWavesPerEU: 4
; NamedBarCnt: 0
; Occupancy: 16
; WaveLimiterHint : 0
; COMPUTE_PGM_RSRC2:SCRATCH_EN: 0
; COMPUTE_PGM_RSRC2:USER_SGPR: 2
; COMPUTE_PGM_RSRC2:TRAP_HANDLER: 0
; COMPUTE_PGM_RSRC2:TGID_X_EN: 1
; COMPUTE_PGM_RSRC2:TGID_Y_EN: 0
; COMPUTE_PGM_RSRC2:TGID_Z_EN: 0
; COMPUTE_PGM_RSRC2:TIDIG_COMP_CNT: 0
	.section	.text._Z11init_kernelIdEvPT_S1_S1_S0_S0_S0_,"axG",@progbits,_Z11init_kernelIdEvPT_S1_S1_S0_S0_S0_,comdat
	.protected	_Z11init_kernelIdEvPT_S1_S1_S0_S0_S0_ ; -- Begin function _Z11init_kernelIdEvPT_S1_S1_S0_S0_S0_
	.globl	_Z11init_kernelIdEvPT_S1_S1_S0_S0_S0_
	.p2align	8
	.type	_Z11init_kernelIdEvPT_S1_S1_S0_S0_S0_,@function
_Z11init_kernelIdEvPT_S1_S1_S0_S0_S0_:  ; @_Z11init_kernelIdEvPT_S1_S1_S0_S0_S0_
; %bb.0:
	s_clause 0x2
	s_load_b32 s12, s[0:1], 0x3c
	s_load_b128 s[4:7], s[0:1], 0x18
	s_load_b64 s[2:3], s[0:1], 0x28
	s_bfe_u32 s8, ttmp6, 0x4000c
	s_and_b32 s13, ttmp6, 15
	s_add_co_i32 s15, s8, 1
	s_load_b128 s[8:11], s[0:1], 0x0
	s_mul_i32 s15, ttmp9, s15
	s_wait_xcnt 0x0
	s_load_b64 s[0:1], s[0:1], 0x10
	s_getreg_b32 s14, hwreg(HW_REG_IB_STS2, 6, 4)
	s_add_co_i32 s13, s13, s15
	s_wait_kmcnt 0x0
	s_and_b32 s12, s12, 0xffff
	s_cmp_eq_u32 s14, 0
	v_dual_mov_b32 v2, s6 :: v_dual_mov_b32 v3, s7
	s_cselect_b32 s13, ttmp9, s13
	v_mov_b32_e32 v1, s5
	v_mad_u32 v6, s13, s12, v0
	v_dual_mov_b32 v0, s4 :: v_dual_mov_b32 v4, s2
	v_mov_b32_e32 v5, s3
	s_clause 0x2
	global_store_b64 v6, v[0:1], s[8:9] scale_offset
	global_store_b64 v6, v[2:3], s[10:11] scale_offset
	;; [unrolled: 1-line block ×3, first 2 shown]
	s_endpgm
	.section	.rodata,"a",@progbits
	.p2align	6, 0x0
	.amdhsa_kernel _Z11init_kernelIdEvPT_S1_S1_S0_S0_S0_
		.amdhsa_group_segment_fixed_size 0
		.amdhsa_private_segment_fixed_size 0
		.amdhsa_kernarg_size 304
		.amdhsa_user_sgpr_count 2
		.amdhsa_user_sgpr_dispatch_ptr 0
		.amdhsa_user_sgpr_queue_ptr 0
		.amdhsa_user_sgpr_kernarg_segment_ptr 1
		.amdhsa_user_sgpr_dispatch_id 0
		.amdhsa_user_sgpr_kernarg_preload_length 0
		.amdhsa_user_sgpr_kernarg_preload_offset 0
		.amdhsa_user_sgpr_private_segment_size 0
		.amdhsa_wavefront_size32 1
		.amdhsa_uses_dynamic_stack 0
		.amdhsa_enable_private_segment 0
		.amdhsa_system_sgpr_workgroup_id_x 1
		.amdhsa_system_sgpr_workgroup_id_y 0
		.amdhsa_system_sgpr_workgroup_id_z 0
		.amdhsa_system_sgpr_workgroup_info 0
		.amdhsa_system_vgpr_workitem_id 0
		.amdhsa_next_free_vgpr 7
		.amdhsa_next_free_sgpr 16
		.amdhsa_named_barrier_count 0
		.amdhsa_reserve_vcc 0
		.amdhsa_float_round_mode_32 0
		.amdhsa_float_round_mode_16_64 0
		.amdhsa_float_denorm_mode_32 3
		.amdhsa_float_denorm_mode_16_64 3
		.amdhsa_fp16_overflow 0
		.amdhsa_memory_ordered 1
		.amdhsa_forward_progress 1
		.amdhsa_inst_pref_size 2
		.amdhsa_round_robin_scheduling 0
		.amdhsa_exception_fp_ieee_invalid_op 0
		.amdhsa_exception_fp_denorm_src 0
		.amdhsa_exception_fp_ieee_div_zero 0
		.amdhsa_exception_fp_ieee_overflow 0
		.amdhsa_exception_fp_ieee_underflow 0
		.amdhsa_exception_fp_ieee_inexact 0
		.amdhsa_exception_int_div_zero 0
	.end_amdhsa_kernel
	.section	.text._Z11init_kernelIdEvPT_S1_S1_S0_S0_S0_,"axG",@progbits,_Z11init_kernelIdEvPT_S1_S1_S0_S0_S0_,comdat
.Lfunc_end7:
	.size	_Z11init_kernelIdEvPT_S1_S1_S0_S0_S0_, .Lfunc_end7-_Z11init_kernelIdEvPT_S1_S1_S0_S0_S0_
                                        ; -- End function
	.set _Z11init_kernelIdEvPT_S1_S1_S0_S0_S0_.num_vgpr, 7
	.set _Z11init_kernelIdEvPT_S1_S1_S0_S0_S0_.num_agpr, 0
	.set _Z11init_kernelIdEvPT_S1_S1_S0_S0_S0_.numbered_sgpr, 16
	.set _Z11init_kernelIdEvPT_S1_S1_S0_S0_S0_.num_named_barrier, 0
	.set _Z11init_kernelIdEvPT_S1_S1_S0_S0_S0_.private_seg_size, 0
	.set _Z11init_kernelIdEvPT_S1_S1_S0_S0_S0_.uses_vcc, 0
	.set _Z11init_kernelIdEvPT_S1_S1_S0_S0_S0_.uses_flat_scratch, 0
	.set _Z11init_kernelIdEvPT_S1_S1_S0_S0_S0_.has_dyn_sized_stack, 0
	.set _Z11init_kernelIdEvPT_S1_S1_S0_S0_S0_.has_recursion, 0
	.set _Z11init_kernelIdEvPT_S1_S1_S0_S0_S0_.has_indirect_call, 0
	.section	.AMDGPU.csdata,"",@progbits
; Kernel info:
; codeLenInByte = 176
; TotalNumSgprs: 16
; NumVgprs: 7
; ScratchSize: 0
; MemoryBound: 1
; FloatMode: 240
; IeeeMode: 1
; LDSByteSize: 0 bytes/workgroup (compile time only)
; SGPRBlocks: 0
; VGPRBlocks: 0
; NumSGPRsForWavesPerEU: 16
; NumVGPRsForWavesPerEU: 7
; NamedBarCnt: 0
; Occupancy: 16
; WaveLimiterHint : 1
; COMPUTE_PGM_RSRC2:SCRATCH_EN: 0
; COMPUTE_PGM_RSRC2:USER_SGPR: 2
; COMPUTE_PGM_RSRC2:TRAP_HANDLER: 0
; COMPUTE_PGM_RSRC2:TGID_X_EN: 1
; COMPUTE_PGM_RSRC2:TGID_Y_EN: 0
; COMPUTE_PGM_RSRC2:TGID_Z_EN: 0
; COMPUTE_PGM_RSRC2:TIDIG_COMP_CNT: 0
	.section	.text._Z11copy_kernelIdEvPKT_PS0_,"axG",@progbits,_Z11copy_kernelIdEvPKT_PS0_,comdat
	.protected	_Z11copy_kernelIdEvPKT_PS0_ ; -- Begin function _Z11copy_kernelIdEvPKT_PS0_
	.globl	_Z11copy_kernelIdEvPKT_PS0_
	.p2align	8
	.type	_Z11copy_kernelIdEvPKT_PS0_,@function
_Z11copy_kernelIdEvPKT_PS0_:            ; @_Z11copy_kernelIdEvPKT_PS0_
; %bb.0:
	s_clause 0x1
	s_load_b32 s2, s[0:1], 0x1c
	s_load_b128 s[4:7], s[0:1], 0x0
	s_wait_xcnt 0x0
	s_bfe_u32 s0, ttmp6, 0x4000c
	s_and_b32 s1, ttmp6, 15
	s_add_co_i32 s0, s0, 1
	s_getreg_b32 s3, hwreg(HW_REG_IB_STS2, 6, 4)
	s_mul_i32 s0, ttmp9, s0
	s_delay_alu instid0(SALU_CYCLE_1) | instskip(SKIP_4) | instid1(SALU_CYCLE_1)
	s_add_co_i32 s1, s1, s0
	s_wait_kmcnt 0x0
	s_and_b32 s2, s2, 0xffff
	s_cmp_eq_u32 s3, 0
	s_cselect_b32 s0, ttmp9, s1
	v_mad_u32 v2, s0, s2, v0
	global_load_b64 v[0:1], v2, s[4:5] scale_offset
	s_wait_loadcnt 0x0
	global_store_b64 v2, v[0:1], s[6:7] scale_offset
	s_endpgm
	.section	.rodata,"a",@progbits
	.p2align	6, 0x0
	.amdhsa_kernel _Z11copy_kernelIdEvPKT_PS0_
		.amdhsa_group_segment_fixed_size 0
		.amdhsa_private_segment_fixed_size 0
		.amdhsa_kernarg_size 272
		.amdhsa_user_sgpr_count 2
		.amdhsa_user_sgpr_dispatch_ptr 0
		.amdhsa_user_sgpr_queue_ptr 0
		.amdhsa_user_sgpr_kernarg_segment_ptr 1
		.amdhsa_user_sgpr_dispatch_id 0
		.amdhsa_user_sgpr_kernarg_preload_length 0
		.amdhsa_user_sgpr_kernarg_preload_offset 0
		.amdhsa_user_sgpr_private_segment_size 0
		.amdhsa_wavefront_size32 1
		.amdhsa_uses_dynamic_stack 0
		.amdhsa_enable_private_segment 0
		.amdhsa_system_sgpr_workgroup_id_x 1
		.amdhsa_system_sgpr_workgroup_id_y 0
		.amdhsa_system_sgpr_workgroup_id_z 0
		.amdhsa_system_sgpr_workgroup_info 0
		.amdhsa_system_vgpr_workitem_id 0
		.amdhsa_next_free_vgpr 3
		.amdhsa_next_free_sgpr 8
		.amdhsa_named_barrier_count 0
		.amdhsa_reserve_vcc 0
		.amdhsa_float_round_mode_32 0
		.amdhsa_float_round_mode_16_64 0
		.amdhsa_float_denorm_mode_32 3
		.amdhsa_float_denorm_mode_16_64 3
		.amdhsa_fp16_overflow 0
		.amdhsa_memory_ordered 1
		.amdhsa_forward_progress 1
		.amdhsa_inst_pref_size 1
		.amdhsa_round_robin_scheduling 0
		.amdhsa_exception_fp_ieee_invalid_op 0
		.amdhsa_exception_fp_denorm_src 0
		.amdhsa_exception_fp_ieee_div_zero 0
		.amdhsa_exception_fp_ieee_overflow 0
		.amdhsa_exception_fp_ieee_underflow 0
		.amdhsa_exception_fp_ieee_inexact 0
		.amdhsa_exception_int_div_zero 0
	.end_amdhsa_kernel
	.section	.text._Z11copy_kernelIdEvPKT_PS0_,"axG",@progbits,_Z11copy_kernelIdEvPKT_PS0_,comdat
.Lfunc_end8:
	.size	_Z11copy_kernelIdEvPKT_PS0_, .Lfunc_end8-_Z11copy_kernelIdEvPKT_PS0_
                                        ; -- End function
	.set _Z11copy_kernelIdEvPKT_PS0_.num_vgpr, 3
	.set _Z11copy_kernelIdEvPKT_PS0_.num_agpr, 0
	.set _Z11copy_kernelIdEvPKT_PS0_.numbered_sgpr, 8
	.set _Z11copy_kernelIdEvPKT_PS0_.num_named_barrier, 0
	.set _Z11copy_kernelIdEvPKT_PS0_.private_seg_size, 0
	.set _Z11copy_kernelIdEvPKT_PS0_.uses_vcc, 0
	.set _Z11copy_kernelIdEvPKT_PS0_.uses_flat_scratch, 0
	.set _Z11copy_kernelIdEvPKT_PS0_.has_dyn_sized_stack, 0
	.set _Z11copy_kernelIdEvPKT_PS0_.has_recursion, 0
	.set _Z11copy_kernelIdEvPKT_PS0_.has_indirect_call, 0
	.section	.AMDGPU.csdata,"",@progbits
; Kernel info:
; codeLenInByte = 116
; TotalNumSgprs: 8
; NumVgprs: 3
; ScratchSize: 0
; MemoryBound: 0
; FloatMode: 240
; IeeeMode: 1
; LDSByteSize: 0 bytes/workgroup (compile time only)
; SGPRBlocks: 0
; VGPRBlocks: 0
; NumSGPRsForWavesPerEU: 8
; NumVGPRsForWavesPerEU: 3
; NamedBarCnt: 0
; Occupancy: 16
; WaveLimiterHint : 0
; COMPUTE_PGM_RSRC2:SCRATCH_EN: 0
; COMPUTE_PGM_RSRC2:USER_SGPR: 2
; COMPUTE_PGM_RSRC2:TRAP_HANDLER: 0
; COMPUTE_PGM_RSRC2:TGID_X_EN: 1
; COMPUTE_PGM_RSRC2:TGID_Y_EN: 0
; COMPUTE_PGM_RSRC2:TGID_Z_EN: 0
; COMPUTE_PGM_RSRC2:TIDIG_COMP_CNT: 0
	.section	.text._Z10mul_kernelIdEvPT_PKS0_,"axG",@progbits,_Z10mul_kernelIdEvPT_PKS0_,comdat
	.protected	_Z10mul_kernelIdEvPT_PKS0_ ; -- Begin function _Z10mul_kernelIdEvPT_PKS0_
	.globl	_Z10mul_kernelIdEvPT_PKS0_
	.p2align	8
	.type	_Z10mul_kernelIdEvPT_PKS0_,@function
_Z10mul_kernelIdEvPT_PKS0_:             ; @_Z10mul_kernelIdEvPT_PKS0_
; %bb.0:
	s_clause 0x1
	s_load_b32 s2, s[0:1], 0x1c
	s_load_b128 s[4:7], s[0:1], 0x0
	s_wait_xcnt 0x0
	s_bfe_u32 s0, ttmp6, 0x4000c
	s_and_b32 s1, ttmp6, 15
	s_add_co_i32 s0, s0, 1
	s_getreg_b32 s3, hwreg(HW_REG_IB_STS2, 6, 4)
	s_mul_i32 s0, ttmp9, s0
	s_delay_alu instid0(SALU_CYCLE_1) | instskip(SKIP_4) | instid1(SALU_CYCLE_1)
	s_add_co_i32 s1, s1, s0
	s_wait_kmcnt 0x0
	s_and_b32 s2, s2, 0xffff
	s_cmp_eq_u32 s3, 0
	s_cselect_b32 s0, ttmp9, s1
	v_mad_u32 v2, s0, s2, v0
	global_load_b64 v[0:1], v2, s[6:7] scale_offset
	s_wait_loadcnt 0x0
	v_mul_f64_e32 v[0:1], 0x3fd999999999999a, v[0:1]
	global_store_b64 v2, v[0:1], s[4:5] scale_offset
	s_endpgm
	.section	.rodata,"a",@progbits
	.p2align	6, 0x0
	.amdhsa_kernel _Z10mul_kernelIdEvPT_PKS0_
		.amdhsa_group_segment_fixed_size 0
		.amdhsa_private_segment_fixed_size 0
		.amdhsa_kernarg_size 272
		.amdhsa_user_sgpr_count 2
		.amdhsa_user_sgpr_dispatch_ptr 0
		.amdhsa_user_sgpr_queue_ptr 0
		.amdhsa_user_sgpr_kernarg_segment_ptr 1
		.amdhsa_user_sgpr_dispatch_id 0
		.amdhsa_user_sgpr_kernarg_preload_length 0
		.amdhsa_user_sgpr_kernarg_preload_offset 0
		.amdhsa_user_sgpr_private_segment_size 0
		.amdhsa_wavefront_size32 1
		.amdhsa_uses_dynamic_stack 0
		.amdhsa_enable_private_segment 0
		.amdhsa_system_sgpr_workgroup_id_x 1
		.amdhsa_system_sgpr_workgroup_id_y 0
		.amdhsa_system_sgpr_workgroup_id_z 0
		.amdhsa_system_sgpr_workgroup_info 0
		.amdhsa_system_vgpr_workitem_id 0
		.amdhsa_next_free_vgpr 3
		.amdhsa_next_free_sgpr 8
		.amdhsa_named_barrier_count 0
		.amdhsa_reserve_vcc 0
		.amdhsa_float_round_mode_32 0
		.amdhsa_float_round_mode_16_64 0
		.amdhsa_float_denorm_mode_32 3
		.amdhsa_float_denorm_mode_16_64 3
		.amdhsa_fp16_overflow 0
		.amdhsa_memory_ordered 1
		.amdhsa_forward_progress 1
		.amdhsa_inst_pref_size 1
		.amdhsa_round_robin_scheduling 0
		.amdhsa_exception_fp_ieee_invalid_op 0
		.amdhsa_exception_fp_denorm_src 0
		.amdhsa_exception_fp_ieee_div_zero 0
		.amdhsa_exception_fp_ieee_overflow 0
		.amdhsa_exception_fp_ieee_underflow 0
		.amdhsa_exception_fp_ieee_inexact 0
		.amdhsa_exception_int_div_zero 0
	.end_amdhsa_kernel
	.section	.text._Z10mul_kernelIdEvPT_PKS0_,"axG",@progbits,_Z10mul_kernelIdEvPT_PKS0_,comdat
.Lfunc_end9:
	.size	_Z10mul_kernelIdEvPT_PKS0_, .Lfunc_end9-_Z10mul_kernelIdEvPT_PKS0_
                                        ; -- End function
	.set _Z10mul_kernelIdEvPT_PKS0_.num_vgpr, 3
	.set _Z10mul_kernelIdEvPT_PKS0_.num_agpr, 0
	.set _Z10mul_kernelIdEvPT_PKS0_.numbered_sgpr, 8
	.set _Z10mul_kernelIdEvPT_PKS0_.num_named_barrier, 0
	.set _Z10mul_kernelIdEvPT_PKS0_.private_seg_size, 0
	.set _Z10mul_kernelIdEvPT_PKS0_.uses_vcc, 0
	.set _Z10mul_kernelIdEvPT_PKS0_.uses_flat_scratch, 0
	.set _Z10mul_kernelIdEvPT_PKS0_.has_dyn_sized_stack, 0
	.set _Z10mul_kernelIdEvPT_PKS0_.has_recursion, 0
	.set _Z10mul_kernelIdEvPT_PKS0_.has_indirect_call, 0
	.section	.AMDGPU.csdata,"",@progbits
; Kernel info:
; codeLenInByte = 128
; TotalNumSgprs: 8
; NumVgprs: 3
; ScratchSize: 0
; MemoryBound: 0
; FloatMode: 240
; IeeeMode: 1
; LDSByteSize: 0 bytes/workgroup (compile time only)
; SGPRBlocks: 0
; VGPRBlocks: 0
; NumSGPRsForWavesPerEU: 8
; NumVGPRsForWavesPerEU: 3
; NamedBarCnt: 0
; Occupancy: 16
; WaveLimiterHint : 0
; COMPUTE_PGM_RSRC2:SCRATCH_EN: 0
; COMPUTE_PGM_RSRC2:USER_SGPR: 2
; COMPUTE_PGM_RSRC2:TRAP_HANDLER: 0
; COMPUTE_PGM_RSRC2:TGID_X_EN: 1
; COMPUTE_PGM_RSRC2:TGID_Y_EN: 0
; COMPUTE_PGM_RSRC2:TGID_Z_EN: 0
; COMPUTE_PGM_RSRC2:TIDIG_COMP_CNT: 0
	.section	.text._Z10add_kernelIdEvPKT_S2_PS0_,"axG",@progbits,_Z10add_kernelIdEvPKT_S2_PS0_,comdat
	.protected	_Z10add_kernelIdEvPKT_S2_PS0_ ; -- Begin function _Z10add_kernelIdEvPKT_S2_PS0_
	.globl	_Z10add_kernelIdEvPKT_S2_PS0_
	.p2align	8
	.type	_Z10add_kernelIdEvPKT_S2_PS0_,@function
_Z10add_kernelIdEvPKT_S2_PS0_:          ; @_Z10add_kernelIdEvPKT_S2_PS0_
; %bb.0:
	s_clause 0x1
	s_load_b32 s2, s[0:1], 0x24
	s_load_b128 s[4:7], s[0:1], 0x0
	s_bfe_u32 s3, ttmp6, 0x4000c
	s_and_b32 s8, ttmp6, 15
	s_add_co_i32 s3, s3, 1
	s_getreg_b32 s9, hwreg(HW_REG_IB_STS2, 6, 4)
	s_mul_i32 s3, ttmp9, s3
	s_wait_xcnt 0x0
	s_load_b64 s[0:1], s[0:1], 0x10
	s_add_co_i32 s8, s8, s3
	s_wait_kmcnt 0x0
	s_and_b32 s2, s2, 0xffff
	s_cmp_eq_u32 s9, 0
	s_cselect_b32 s3, ttmp9, s8
	s_delay_alu instid0(SALU_CYCLE_1)
	v_mad_u32 v4, s3, s2, v0
	s_clause 0x1
	global_load_b64 v[0:1], v4, s[4:5] scale_offset
	global_load_b64 v[2:3], v4, s[6:7] scale_offset
	s_wait_loadcnt 0x0
	v_add_f64_e32 v[0:1], v[0:1], v[2:3]
	global_store_b64 v4, v[0:1], s[0:1] scale_offset
	s_endpgm
	.section	.rodata,"a",@progbits
	.p2align	6, 0x0
	.amdhsa_kernel _Z10add_kernelIdEvPKT_S2_PS0_
		.amdhsa_group_segment_fixed_size 0
		.amdhsa_private_segment_fixed_size 0
		.amdhsa_kernarg_size 280
		.amdhsa_user_sgpr_count 2
		.amdhsa_user_sgpr_dispatch_ptr 0
		.amdhsa_user_sgpr_queue_ptr 0
		.amdhsa_user_sgpr_kernarg_segment_ptr 1
		.amdhsa_user_sgpr_dispatch_id 0
		.amdhsa_user_sgpr_kernarg_preload_length 0
		.amdhsa_user_sgpr_kernarg_preload_offset 0
		.amdhsa_user_sgpr_private_segment_size 0
		.amdhsa_wavefront_size32 1
		.amdhsa_uses_dynamic_stack 0
		.amdhsa_enable_private_segment 0
		.amdhsa_system_sgpr_workgroup_id_x 1
		.amdhsa_system_sgpr_workgroup_id_y 0
		.amdhsa_system_sgpr_workgroup_id_z 0
		.amdhsa_system_sgpr_workgroup_info 0
		.amdhsa_system_vgpr_workitem_id 0
		.amdhsa_next_free_vgpr 5
		.amdhsa_next_free_sgpr 10
		.amdhsa_named_barrier_count 0
		.amdhsa_reserve_vcc 0
		.amdhsa_float_round_mode_32 0
		.amdhsa_float_round_mode_16_64 0
		.amdhsa_float_denorm_mode_32 3
		.amdhsa_float_denorm_mode_16_64 3
		.amdhsa_fp16_overflow 0
		.amdhsa_memory_ordered 1
		.amdhsa_forward_progress 1
		.amdhsa_inst_pref_size 2
		.amdhsa_round_robin_scheduling 0
		.amdhsa_exception_fp_ieee_invalid_op 0
		.amdhsa_exception_fp_denorm_src 0
		.amdhsa_exception_fp_ieee_div_zero 0
		.amdhsa_exception_fp_ieee_overflow 0
		.amdhsa_exception_fp_ieee_underflow 0
		.amdhsa_exception_fp_ieee_inexact 0
		.amdhsa_exception_int_div_zero 0
	.end_amdhsa_kernel
	.section	.text._Z10add_kernelIdEvPKT_S2_PS0_,"axG",@progbits,_Z10add_kernelIdEvPKT_S2_PS0_,comdat
.Lfunc_end10:
	.size	_Z10add_kernelIdEvPKT_S2_PS0_, .Lfunc_end10-_Z10add_kernelIdEvPKT_S2_PS0_
                                        ; -- End function
	.set _Z10add_kernelIdEvPKT_S2_PS0_.num_vgpr, 5
	.set _Z10add_kernelIdEvPKT_S2_PS0_.num_agpr, 0
	.set _Z10add_kernelIdEvPKT_S2_PS0_.numbered_sgpr, 10
	.set _Z10add_kernelIdEvPKT_S2_PS0_.num_named_barrier, 0
	.set _Z10add_kernelIdEvPKT_S2_PS0_.private_seg_size, 0
	.set _Z10add_kernelIdEvPKT_S2_PS0_.uses_vcc, 0
	.set _Z10add_kernelIdEvPKT_S2_PS0_.uses_flat_scratch, 0
	.set _Z10add_kernelIdEvPKT_S2_PS0_.has_dyn_sized_stack, 0
	.set _Z10add_kernelIdEvPKT_S2_PS0_.has_recursion, 0
	.set _Z10add_kernelIdEvPKT_S2_PS0_.has_indirect_call, 0
	.section	.AMDGPU.csdata,"",@progbits
; Kernel info:
; codeLenInByte = 144
; TotalNumSgprs: 10
; NumVgprs: 5
; ScratchSize: 0
; MemoryBound: 0
; FloatMode: 240
; IeeeMode: 1
; LDSByteSize: 0 bytes/workgroup (compile time only)
; SGPRBlocks: 0
; VGPRBlocks: 0
; NumSGPRsForWavesPerEU: 10
; NumVGPRsForWavesPerEU: 5
; NamedBarCnt: 0
; Occupancy: 16
; WaveLimiterHint : 0
; COMPUTE_PGM_RSRC2:SCRATCH_EN: 0
; COMPUTE_PGM_RSRC2:USER_SGPR: 2
; COMPUTE_PGM_RSRC2:TRAP_HANDLER: 0
; COMPUTE_PGM_RSRC2:TGID_X_EN: 1
; COMPUTE_PGM_RSRC2:TGID_Y_EN: 0
; COMPUTE_PGM_RSRC2:TGID_Z_EN: 0
; COMPUTE_PGM_RSRC2:TIDIG_COMP_CNT: 0
	.section	.text._Z12triad_kernelIdEvPT_PKS0_S3_,"axG",@progbits,_Z12triad_kernelIdEvPT_PKS0_S3_,comdat
	.protected	_Z12triad_kernelIdEvPT_PKS0_S3_ ; -- Begin function _Z12triad_kernelIdEvPT_PKS0_S3_
	.globl	_Z12triad_kernelIdEvPT_PKS0_S3_
	.p2align	8
	.type	_Z12triad_kernelIdEvPT_PKS0_S3_,@function
_Z12triad_kernelIdEvPT_PKS0_S3_:        ; @_Z12triad_kernelIdEvPT_PKS0_S3_
; %bb.0:
	s_load_b32 s8, s[0:1], 0x24
	s_bfe_u32 s2, ttmp6, 0x4000c
	s_and_b32 s9, ttmp6, 15
	s_add_co_i32 s10, s2, 1
	s_clause 0x1
	s_load_b128 s[4:7], s[0:1], 0x0
	s_load_b64 s[2:3], s[0:1], 0x10
	s_wait_xcnt 0x0
	s_mul_i32 s0, ttmp9, s10
	s_getreg_b32 s1, hwreg(HW_REG_IB_STS2, 6, 4)
	s_add_co_i32 s9, s9, s0
	s_wait_kmcnt 0x0
	s_and_b32 s0, s8, 0xffff
	s_cmp_eq_u32 s1, 0
	s_cselect_b32 s1, ttmp9, s9
	s_delay_alu instid0(SALU_CYCLE_1)
	v_mad_u32 v4, s1, s0, v0
	s_clause 0x1
	global_load_b64 v[0:1], v4, s[6:7] scale_offset
	global_load_b64 v[2:3], v4, s[2:3] scale_offset
	s_wait_loadcnt 0x0
	v_fmamk_f64 v[0:1], v[2:3], 0x3fd999999999999a, v[0:1]
	global_store_b64 v4, v[0:1], s[4:5] scale_offset
	s_endpgm
	.section	.rodata,"a",@progbits
	.p2align	6, 0x0
	.amdhsa_kernel _Z12triad_kernelIdEvPT_PKS0_S3_
		.amdhsa_group_segment_fixed_size 0
		.amdhsa_private_segment_fixed_size 0
		.amdhsa_kernarg_size 280
		.amdhsa_user_sgpr_count 2
		.amdhsa_user_sgpr_dispatch_ptr 0
		.amdhsa_user_sgpr_queue_ptr 0
		.amdhsa_user_sgpr_kernarg_segment_ptr 1
		.amdhsa_user_sgpr_dispatch_id 0
		.amdhsa_user_sgpr_kernarg_preload_length 0
		.amdhsa_user_sgpr_kernarg_preload_offset 0
		.amdhsa_user_sgpr_private_segment_size 0
		.amdhsa_wavefront_size32 1
		.amdhsa_uses_dynamic_stack 0
		.amdhsa_enable_private_segment 0
		.amdhsa_system_sgpr_workgroup_id_x 1
		.amdhsa_system_sgpr_workgroup_id_y 0
		.amdhsa_system_sgpr_workgroup_id_z 0
		.amdhsa_system_sgpr_workgroup_info 0
		.amdhsa_system_vgpr_workitem_id 0
		.amdhsa_next_free_vgpr 5
		.amdhsa_next_free_sgpr 11
		.amdhsa_named_barrier_count 0
		.amdhsa_reserve_vcc 0
		.amdhsa_float_round_mode_32 0
		.amdhsa_float_round_mode_16_64 0
		.amdhsa_float_denorm_mode_32 3
		.amdhsa_float_denorm_mode_16_64 3
		.amdhsa_fp16_overflow 0
		.amdhsa_memory_ordered 1
		.amdhsa_forward_progress 1
		.amdhsa_inst_pref_size 2
		.amdhsa_round_robin_scheduling 0
		.amdhsa_exception_fp_ieee_invalid_op 0
		.amdhsa_exception_fp_denorm_src 0
		.amdhsa_exception_fp_ieee_div_zero 0
		.amdhsa_exception_fp_ieee_overflow 0
		.amdhsa_exception_fp_ieee_underflow 0
		.amdhsa_exception_fp_ieee_inexact 0
		.amdhsa_exception_int_div_zero 0
	.end_amdhsa_kernel
	.section	.text._Z12triad_kernelIdEvPT_PKS0_S3_,"axG",@progbits,_Z12triad_kernelIdEvPT_PKS0_S3_,comdat
.Lfunc_end11:
	.size	_Z12triad_kernelIdEvPT_PKS0_S3_, .Lfunc_end11-_Z12triad_kernelIdEvPT_PKS0_S3_
                                        ; -- End function
	.set _Z12triad_kernelIdEvPT_PKS0_S3_.num_vgpr, 5
	.set _Z12triad_kernelIdEvPT_PKS0_S3_.num_agpr, 0
	.set _Z12triad_kernelIdEvPT_PKS0_S3_.numbered_sgpr, 11
	.set _Z12triad_kernelIdEvPT_PKS0_S3_.num_named_barrier, 0
	.set _Z12triad_kernelIdEvPT_PKS0_S3_.private_seg_size, 0
	.set _Z12triad_kernelIdEvPT_PKS0_S3_.uses_vcc, 0
	.set _Z12triad_kernelIdEvPT_PKS0_S3_.uses_flat_scratch, 0
	.set _Z12triad_kernelIdEvPT_PKS0_S3_.has_dyn_sized_stack, 0
	.set _Z12triad_kernelIdEvPT_PKS0_S3_.has_recursion, 0
	.set _Z12triad_kernelIdEvPT_PKS0_S3_.has_indirect_call, 0
	.section	.AMDGPU.csdata,"",@progbits
; Kernel info:
; codeLenInByte = 152
; TotalNumSgprs: 11
; NumVgprs: 5
; ScratchSize: 0
; MemoryBound: 0
; FloatMode: 240
; IeeeMode: 1
; LDSByteSize: 0 bytes/workgroup (compile time only)
; SGPRBlocks: 0
; VGPRBlocks: 0
; NumSGPRsForWavesPerEU: 11
; NumVGPRsForWavesPerEU: 5
; NamedBarCnt: 0
; Occupancy: 16
; WaveLimiterHint : 0
; COMPUTE_PGM_RSRC2:SCRATCH_EN: 0
; COMPUTE_PGM_RSRC2:USER_SGPR: 2
; COMPUTE_PGM_RSRC2:TRAP_HANDLER: 0
; COMPUTE_PGM_RSRC2:TGID_X_EN: 1
; COMPUTE_PGM_RSRC2:TGID_Y_EN: 0
; COMPUTE_PGM_RSRC2:TGID_Z_EN: 0
; COMPUTE_PGM_RSRC2:TIDIG_COMP_CNT: 0
	.section	.text._Z10dot_kernelIdEvPKT_S2_PS0_i,"axG",@progbits,_Z10dot_kernelIdEvPKT_S2_PS0_i,comdat
	.protected	_Z10dot_kernelIdEvPKT_S2_PS0_i ; -- Begin function _Z10dot_kernelIdEvPKT_S2_PS0_i
	.globl	_Z10dot_kernelIdEvPKT_S2_PS0_i
	.p2align	8
	.type	_Z10dot_kernelIdEvPKT_S2_PS0_i,@function
_Z10dot_kernelIdEvPKT_S2_PS0_i:         ; @_Z10dot_kernelIdEvPKT_S2_PS0_i
; %bb.0:
	s_clause 0x1
	s_load_b32 s3, s[0:1], 0x2c
	s_load_b96 s[8:10], s[0:1], 0x10
	s_bfe_u32 s2, ttmp6, 0x4000c
	s_and_b32 s4, ttmp6, 15
	s_add_co_i32 s2, s2, 1
	s_getreg_b32 s5, hwreg(HW_REG_IB_STS2, 6, 4)
	s_mul_i32 s2, ttmp9, s2
	v_mov_b64_e32 v[2:3], 0
	s_add_co_i32 s4, s4, s2
	s_cmp_eq_u32 s5, 0
	v_lshlrev_b32_e32 v1, 3, v0
	s_cselect_b32 s2, ttmp9, s4
	s_mov_b32 s12, 0
	s_mov_b32 s11, exec_lo
	ds_store_b64 v1, v[2:3]
	s_wait_kmcnt 0x0
	s_and_b32 s3, s3, 0xffff
	s_delay_alu instid0(SALU_CYCLE_1) | instskip(NEXT) | instid1(VALU_DEP_1)
	v_mad_u32 v4, s2, s3, v0
	v_cmpx_gt_i32_e64 s10, v4
	s_cbranch_execz .LBB12_4
; %bb.1:
	s_add_nc_u64 s[14:15], s[0:1], 32
	s_load_b32 s13, s[14:15], 0x0
	s_load_b128 s[4:7], s[0:1], 0x0
	s_wait_kmcnt 0x0
	s_mul_i32 s0, s13, s3
.LBB12_2:                               ; =>This Inner Loop Header: Depth=1
	s_clause 0x1
	global_load_b64 v[6:7], v4, s[4:5] scale_offset
	global_load_b64 v[8:9], v4, s[6:7] scale_offset
	s_wait_xcnt 0x0
	v_add_nc_u32_e32 v4, s0, v4
	s_delay_alu instid0(VALU_DEP_1)
	v_cmp_le_i32_e32 vcc_lo, s10, v4
	s_or_b32 s12, vcc_lo, s12
	s_wait_loadcnt 0x0
	v_fmac_f64_e32 v[2:3], v[6:7], v[8:9]
	s_and_not1_b32 exec_lo, exec_lo, s12
	s_cbranch_execnz .LBB12_2
; %bb.3:
	s_or_b32 exec_lo, exec_lo, s12
	ds_store_b64 v1, v[2:3]
.LBB12_4:
	s_or_b32 exec_lo, exec_lo, s11
	s_cmp_lt_u32 s3, 2
	s_cbranch_scc0 .LBB12_9
.LBB12_5:
	s_mov_b32 s0, exec_lo
	v_cmpx_eq_u32_e32 0, v0
	s_cbranch_execz .LBB12_7
; %bb.6:
	ds_load_b64 v[0:1], v1
	v_mov_b32_e32 v2, s2
	s_wait_dscnt 0x0
	global_store_b64 v2, v[0:1], s[8:9] scale_offset
.LBB12_7:
	s_endpgm
.LBB12_8:                               ;   in Loop: Header=BB12_9 Depth=1
	s_or_b32 exec_lo, exec_lo, s1
	s_cmp_lt_u32 s3, 4
	s_mov_b32 s3, s0
	s_cbranch_scc1 .LBB12_5
.LBB12_9:                               ; =>This Inner Loop Header: Depth=1
	s_lshr_b32 s0, s3, 1
	s_mov_b32 s1, exec_lo
	s_wait_dscnt 0x0
	s_barrier_signal -1
	s_barrier_wait -1
	v_cmpx_gt_u32_e64 s0, v0
	s_cbranch_execz .LBB12_8
; %bb.10:                               ;   in Loop: Header=BB12_9 Depth=1
	v_lshl_add_u32 v2, s0, 3, v1
	ds_load_b64 v[2:3], v2
	ds_load_b64 v[4:5], v1
	s_wait_dscnt 0x0
	v_add_f64_e32 v[2:3], v[2:3], v[4:5]
	ds_store_b64 v1, v[2:3]
	s_branch .LBB12_8
	.section	.rodata,"a",@progbits
	.p2align	6, 0x0
	.amdhsa_kernel _Z10dot_kernelIdEvPKT_S2_PS0_i
		.amdhsa_group_segment_fixed_size 2048
		.amdhsa_private_segment_fixed_size 0
		.amdhsa_kernarg_size 288
		.amdhsa_user_sgpr_count 2
		.amdhsa_user_sgpr_dispatch_ptr 0
		.amdhsa_user_sgpr_queue_ptr 0
		.amdhsa_user_sgpr_kernarg_segment_ptr 1
		.amdhsa_user_sgpr_dispatch_id 0
		.amdhsa_user_sgpr_kernarg_preload_length 0
		.amdhsa_user_sgpr_kernarg_preload_offset 0
		.amdhsa_user_sgpr_private_segment_size 0
		.amdhsa_wavefront_size32 1
		.amdhsa_uses_dynamic_stack 0
		.amdhsa_enable_private_segment 0
		.amdhsa_system_sgpr_workgroup_id_x 1
		.amdhsa_system_sgpr_workgroup_id_y 0
		.amdhsa_system_sgpr_workgroup_id_z 0
		.amdhsa_system_sgpr_workgroup_info 0
		.amdhsa_system_vgpr_workitem_id 0
		.amdhsa_next_free_vgpr 10
		.amdhsa_next_free_sgpr 16
		.amdhsa_named_barrier_count 0
		.amdhsa_reserve_vcc 1
		.amdhsa_float_round_mode_32 0
		.amdhsa_float_round_mode_16_64 0
		.amdhsa_float_denorm_mode_32 3
		.amdhsa_float_denorm_mode_16_64 3
		.amdhsa_fp16_overflow 0
		.amdhsa_memory_ordered 1
		.amdhsa_forward_progress 1
		.amdhsa_inst_pref_size 3
		.amdhsa_round_robin_scheduling 0
		.amdhsa_exception_fp_ieee_invalid_op 0
		.amdhsa_exception_fp_denorm_src 0
		.amdhsa_exception_fp_ieee_div_zero 0
		.amdhsa_exception_fp_ieee_overflow 0
		.amdhsa_exception_fp_ieee_underflow 0
		.amdhsa_exception_fp_ieee_inexact 0
		.amdhsa_exception_int_div_zero 0
	.end_amdhsa_kernel
	.section	.text._Z10dot_kernelIdEvPKT_S2_PS0_i,"axG",@progbits,_Z10dot_kernelIdEvPKT_S2_PS0_i,comdat
.Lfunc_end12:
	.size	_Z10dot_kernelIdEvPKT_S2_PS0_i, .Lfunc_end12-_Z10dot_kernelIdEvPKT_S2_PS0_i
                                        ; -- End function
	.set _Z10dot_kernelIdEvPKT_S2_PS0_i.num_vgpr, 10
	.set _Z10dot_kernelIdEvPKT_S2_PS0_i.num_agpr, 0
	.set _Z10dot_kernelIdEvPKT_S2_PS0_i.numbered_sgpr, 16
	.set _Z10dot_kernelIdEvPKT_S2_PS0_i.num_named_barrier, 0
	.set _Z10dot_kernelIdEvPKT_S2_PS0_i.private_seg_size, 0
	.set _Z10dot_kernelIdEvPKT_S2_PS0_i.uses_vcc, 1
	.set _Z10dot_kernelIdEvPKT_S2_PS0_i.uses_flat_scratch, 0
	.set _Z10dot_kernelIdEvPKT_S2_PS0_i.has_dyn_sized_stack, 0
	.set _Z10dot_kernelIdEvPKT_S2_PS0_i.has_recursion, 0
	.set _Z10dot_kernelIdEvPKT_S2_PS0_i.has_indirect_call, 0
	.section	.AMDGPU.csdata,"",@progbits
; Kernel info:
; codeLenInByte = 368
; TotalNumSgprs: 18
; NumVgprs: 10
; ScratchSize: 0
; MemoryBound: 0
; FloatMode: 240
; IeeeMode: 1
; LDSByteSize: 2048 bytes/workgroup (compile time only)
; SGPRBlocks: 0
; VGPRBlocks: 0
; NumSGPRsForWavesPerEU: 18
; NumVGPRsForWavesPerEU: 10
; NamedBarCnt: 0
; Occupancy: 16
; WaveLimiterHint : 0
; COMPUTE_PGM_RSRC2:SCRATCH_EN: 0
; COMPUTE_PGM_RSRC2:USER_SGPR: 2
; COMPUTE_PGM_RSRC2:TRAP_HANDLER: 0
; COMPUTE_PGM_RSRC2:TGID_X_EN: 1
; COMPUTE_PGM_RSRC2:TGID_Y_EN: 0
; COMPUTE_PGM_RSRC2:TGID_Z_EN: 0
; COMPUTE_PGM_RSRC2:TIDIG_COMP_CNT: 0
	.section	.text._Z14nstream_kernelIdEvPT_PKS0_S3_,"axG",@progbits,_Z14nstream_kernelIdEvPT_PKS0_S3_,comdat
	.protected	_Z14nstream_kernelIdEvPT_PKS0_S3_ ; -- Begin function _Z14nstream_kernelIdEvPT_PKS0_S3_
	.globl	_Z14nstream_kernelIdEvPT_PKS0_S3_
	.p2align	8
	.type	_Z14nstream_kernelIdEvPT_PKS0_S3_,@function
_Z14nstream_kernelIdEvPT_PKS0_S3_:      ; @_Z14nstream_kernelIdEvPT_PKS0_S3_
; %bb.0:
	s_load_b32 s2, s[0:1], 0x24
	s_bfe_u32 s4, ttmp6, 0x4000c
	s_and_b32 s3, ttmp6, 15
	s_add_co_i32 s9, s4, 1
	s_load_b128 s[4:7], s[0:1], 0x0
	s_mul_i32 s9, ttmp9, s9
	s_wait_xcnt 0x0
	s_load_b64 s[0:1], s[0:1], 0x10
	s_getreg_b32 s8, hwreg(HW_REG_IB_STS2, 6, 4)
	s_add_co_i32 s3, s3, s9
	s_wait_kmcnt 0x0
	s_and_b32 s2, s2, 0xffff
	s_cmp_eq_u32 s8, 0
	s_cselect_b32 s3, ttmp9, s3
	s_delay_alu instid0(SALU_CYCLE_1)
	v_mad_u32 v6, s3, s2, v0
	s_clause 0x2
	global_load_b64 v[0:1], v6, s[6:7] scale_offset
	global_load_b64 v[2:3], v6, s[4:5] scale_offset
	;; [unrolled: 1-line block ×3, first 2 shown]
	s_wait_loadcnt 0x0
	v_fmamk_f64 v[0:1], v[4:5], 0x3fd999999999999a, v[0:1]
	s_delay_alu instid0(VALU_DEP_1)
	v_add_f64_e32 v[0:1], v[2:3], v[0:1]
	global_store_b64 v6, v[0:1], s[4:5] scale_offset
	s_endpgm
	.section	.rodata,"a",@progbits
	.p2align	6, 0x0
	.amdhsa_kernel _Z14nstream_kernelIdEvPT_PKS0_S3_
		.amdhsa_group_segment_fixed_size 0
		.amdhsa_private_segment_fixed_size 0
		.amdhsa_kernarg_size 280
		.amdhsa_user_sgpr_count 2
		.amdhsa_user_sgpr_dispatch_ptr 0
		.amdhsa_user_sgpr_queue_ptr 0
		.amdhsa_user_sgpr_kernarg_segment_ptr 1
		.amdhsa_user_sgpr_dispatch_id 0
		.amdhsa_user_sgpr_kernarg_preload_length 0
		.amdhsa_user_sgpr_kernarg_preload_offset 0
		.amdhsa_user_sgpr_private_segment_size 0
		.amdhsa_wavefront_size32 1
		.amdhsa_uses_dynamic_stack 0
		.amdhsa_enable_private_segment 0
		.amdhsa_system_sgpr_workgroup_id_x 1
		.amdhsa_system_sgpr_workgroup_id_y 0
		.amdhsa_system_sgpr_workgroup_id_z 0
		.amdhsa_system_sgpr_workgroup_info 0
		.amdhsa_system_vgpr_workitem_id 0
		.amdhsa_next_free_vgpr 7
		.amdhsa_next_free_sgpr 10
		.amdhsa_named_barrier_count 0
		.amdhsa_reserve_vcc 0
		.amdhsa_float_round_mode_32 0
		.amdhsa_float_round_mode_16_64 0
		.amdhsa_float_denorm_mode_32 3
		.amdhsa_float_denorm_mode_16_64 3
		.amdhsa_fp16_overflow 0
		.amdhsa_memory_ordered 1
		.amdhsa_forward_progress 1
		.amdhsa_inst_pref_size 2
		.amdhsa_round_robin_scheduling 0
		.amdhsa_exception_fp_ieee_invalid_op 0
		.amdhsa_exception_fp_denorm_src 0
		.amdhsa_exception_fp_ieee_div_zero 0
		.amdhsa_exception_fp_ieee_overflow 0
		.amdhsa_exception_fp_ieee_underflow 0
		.amdhsa_exception_fp_ieee_inexact 0
		.amdhsa_exception_int_div_zero 0
	.end_amdhsa_kernel
	.section	.text._Z14nstream_kernelIdEvPT_PKS0_S3_,"axG",@progbits,_Z14nstream_kernelIdEvPT_PKS0_S3_,comdat
.Lfunc_end13:
	.size	_Z14nstream_kernelIdEvPT_PKS0_S3_, .Lfunc_end13-_Z14nstream_kernelIdEvPT_PKS0_S3_
                                        ; -- End function
	.set _Z14nstream_kernelIdEvPT_PKS0_S3_.num_vgpr, 7
	.set _Z14nstream_kernelIdEvPT_PKS0_S3_.num_agpr, 0
	.set _Z14nstream_kernelIdEvPT_PKS0_S3_.numbered_sgpr, 10
	.set _Z14nstream_kernelIdEvPT_PKS0_S3_.num_named_barrier, 0
	.set _Z14nstream_kernelIdEvPT_PKS0_S3_.private_seg_size, 0
	.set _Z14nstream_kernelIdEvPT_PKS0_S3_.uses_vcc, 0
	.set _Z14nstream_kernelIdEvPT_PKS0_S3_.uses_flat_scratch, 0
	.set _Z14nstream_kernelIdEvPT_PKS0_S3_.has_dyn_sized_stack, 0
	.set _Z14nstream_kernelIdEvPT_PKS0_S3_.has_recursion, 0
	.set _Z14nstream_kernelIdEvPT_PKS0_S3_.has_indirect_call, 0
	.section	.AMDGPU.csdata,"",@progbits
; Kernel info:
; codeLenInByte = 168
; TotalNumSgprs: 10
; NumVgprs: 7
; ScratchSize: 0
; MemoryBound: 0
; FloatMode: 240
; IeeeMode: 1
; LDSByteSize: 0 bytes/workgroup (compile time only)
; SGPRBlocks: 0
; VGPRBlocks: 0
; NumSGPRsForWavesPerEU: 10
; NumVGPRsForWavesPerEU: 7
; NamedBarCnt: 0
; Occupancy: 16
; WaveLimiterHint : 0
; COMPUTE_PGM_RSRC2:SCRATCH_EN: 0
; COMPUTE_PGM_RSRC2:USER_SGPR: 2
; COMPUTE_PGM_RSRC2:TRAP_HANDLER: 0
; COMPUTE_PGM_RSRC2:TGID_X_EN: 1
; COMPUTE_PGM_RSRC2:TGID_Y_EN: 0
; COMPUTE_PGM_RSRC2:TGID_Z_EN: 0
; COMPUTE_PGM_RSRC2:TIDIG_COMP_CNT: 0
	.section	.AMDGPU.gpr_maximums,"",@progbits
	.set amdgpu.max_num_vgpr, 0
	.set amdgpu.max_num_agpr, 0
	.set amdgpu.max_num_sgpr, 0
	.section	.AMDGPU.csdata,"",@progbits
	.type	__hip_cuid_adc1fa5a3ffa787d,@object ; @__hip_cuid_adc1fa5a3ffa787d
	.section	.bss,"aw",@nobits
	.globl	__hip_cuid_adc1fa5a3ffa787d
__hip_cuid_adc1fa5a3ffa787d:
	.byte	0                               ; 0x0
	.size	__hip_cuid_adc1fa5a3ffa787d, 1

	.ident	"AMD clang version 22.0.0git (https://github.com/RadeonOpenCompute/llvm-project roc-7.2.4 26084 f58b06dce1f9c15707c5f808fd002e18c2accf7e)"
	.section	".note.GNU-stack","",@progbits
	.addrsig
	.addrsig_sym __hip_cuid_adc1fa5a3ffa787d
	.amdgpu_metadata
---
amdhsa.kernels:
  - .args:
      - .actual_access:  write_only
        .address_space:  global
        .offset:         0
        .size:           8
        .value_kind:     global_buffer
      - .actual_access:  write_only
        .address_space:  global
        .offset:         8
        .size:           8
        .value_kind:     global_buffer
      - .actual_access:  write_only
        .address_space:  global
        .offset:         16
        .size:           8
        .value_kind:     global_buffer
      - .offset:         24
        .size:           4
        .value_kind:     by_value
      - .offset:         28
        .size:           4
        .value_kind:     by_value
      - .offset:         32
        .size:           4
        .value_kind:     by_value
      - .offset:         40
        .size:           4
        .value_kind:     hidden_block_count_x
      - .offset:         44
        .size:           4
        .value_kind:     hidden_block_count_y
      - .offset:         48
        .size:           4
        .value_kind:     hidden_block_count_z
      - .offset:         52
        .size:           2
        .value_kind:     hidden_group_size_x
      - .offset:         54
        .size:           2
        .value_kind:     hidden_group_size_y
      - .offset:         56
        .size:           2
        .value_kind:     hidden_group_size_z
      - .offset:         58
        .size:           2
        .value_kind:     hidden_remainder_x
      - .offset:         60
        .size:           2
        .value_kind:     hidden_remainder_y
      - .offset:         62
        .size:           2
        .value_kind:     hidden_remainder_z
      - .offset:         80
        .size:           8
        .value_kind:     hidden_global_offset_x
      - .offset:         88
        .size:           8
        .value_kind:     hidden_global_offset_y
      - .offset:         96
        .size:           8
        .value_kind:     hidden_global_offset_z
      - .offset:         104
        .size:           2
        .value_kind:     hidden_grid_dims
    .group_segment_fixed_size: 0
    .kernarg_segment_align: 8
    .kernarg_segment_size: 296
    .language:       OpenCL C
    .language_version:
      - 2
      - 0
    .max_flat_workgroup_size: 1024
    .name:           _Z11init_kernelIfEvPT_S1_S1_S0_S0_S0_
    .private_segment_fixed_size: 0
    .sgpr_count:     13
    .sgpr_spill_count: 0
    .symbol:         _Z11init_kernelIfEvPT_S1_S1_S0_S0_S0_.kd
    .uniform_work_group_size: 1
    .uses_dynamic_stack: false
    .vgpr_count:     4
    .vgpr_spill_count: 0
    .wavefront_size: 32
  - .args:
      - .actual_access:  read_only
        .address_space:  global
        .offset:         0
        .size:           8
        .value_kind:     global_buffer
      - .actual_access:  write_only
        .address_space:  global
        .offset:         8
        .size:           8
        .value_kind:     global_buffer
      - .offset:         16
        .size:           4
        .value_kind:     hidden_block_count_x
      - .offset:         20
        .size:           4
        .value_kind:     hidden_block_count_y
      - .offset:         24
        .size:           4
        .value_kind:     hidden_block_count_z
      - .offset:         28
        .size:           2
        .value_kind:     hidden_group_size_x
      - .offset:         30
        .size:           2
        .value_kind:     hidden_group_size_y
      - .offset:         32
        .size:           2
        .value_kind:     hidden_group_size_z
      - .offset:         34
        .size:           2
        .value_kind:     hidden_remainder_x
      - .offset:         36
        .size:           2
        .value_kind:     hidden_remainder_y
      - .offset:         38
        .size:           2
        .value_kind:     hidden_remainder_z
      - .offset:         56
        .size:           8
        .value_kind:     hidden_global_offset_x
      - .offset:         64
        .size:           8
        .value_kind:     hidden_global_offset_y
      - .offset:         72
        .size:           8
        .value_kind:     hidden_global_offset_z
      - .offset:         80
        .size:           2
        .value_kind:     hidden_grid_dims
    .group_segment_fixed_size: 0
    .kernarg_segment_align: 8
    .kernarg_segment_size: 272
    .language:       OpenCL C
    .language_version:
      - 2
      - 0
    .max_flat_workgroup_size: 1024
    .name:           _Z11copy_kernelIfEvPKT_PS0_
    .private_segment_fixed_size: 0
    .sgpr_count:     8
    .sgpr_spill_count: 0
    .symbol:         _Z11copy_kernelIfEvPKT_PS0_.kd
    .uniform_work_group_size: 1
    .uses_dynamic_stack: false
    .vgpr_count:     2
    .vgpr_spill_count: 0
    .wavefront_size: 32
  - .args:
      - .actual_access:  write_only
        .address_space:  global
        .offset:         0
        .size:           8
        .value_kind:     global_buffer
      - .actual_access:  read_only
        .address_space:  global
        .offset:         8
        .size:           8
        .value_kind:     global_buffer
      - .offset:         16
        .size:           4
        .value_kind:     hidden_block_count_x
      - .offset:         20
        .size:           4
        .value_kind:     hidden_block_count_y
      - .offset:         24
        .size:           4
        .value_kind:     hidden_block_count_z
      - .offset:         28
        .size:           2
        .value_kind:     hidden_group_size_x
      - .offset:         30
        .size:           2
        .value_kind:     hidden_group_size_y
      - .offset:         32
        .size:           2
        .value_kind:     hidden_group_size_z
      - .offset:         34
        .size:           2
        .value_kind:     hidden_remainder_x
      - .offset:         36
        .size:           2
        .value_kind:     hidden_remainder_y
      - .offset:         38
        .size:           2
        .value_kind:     hidden_remainder_z
      - .offset:         56
        .size:           8
        .value_kind:     hidden_global_offset_x
      - .offset:         64
        .size:           8
        .value_kind:     hidden_global_offset_y
      - .offset:         72
        .size:           8
        .value_kind:     hidden_global_offset_z
      - .offset:         80
        .size:           2
        .value_kind:     hidden_grid_dims
    .group_segment_fixed_size: 0
    .kernarg_segment_align: 8
    .kernarg_segment_size: 272
    .language:       OpenCL C
    .language_version:
      - 2
      - 0
    .max_flat_workgroup_size: 1024
    .name:           _Z10mul_kernelIfEvPT_PKS0_
    .private_segment_fixed_size: 0
    .sgpr_count:     8
    .sgpr_spill_count: 0
    .symbol:         _Z10mul_kernelIfEvPT_PKS0_.kd
    .uniform_work_group_size: 1
    .uses_dynamic_stack: false
    .vgpr_count:     2
    .vgpr_spill_count: 0
    .wavefront_size: 32
  - .args:
      - .actual_access:  read_only
        .address_space:  global
        .offset:         0
        .size:           8
        .value_kind:     global_buffer
      - .actual_access:  read_only
        .address_space:  global
        .offset:         8
        .size:           8
        .value_kind:     global_buffer
      - .actual_access:  write_only
        .address_space:  global
        .offset:         16
        .size:           8
        .value_kind:     global_buffer
      - .offset:         24
        .size:           4
        .value_kind:     hidden_block_count_x
      - .offset:         28
        .size:           4
        .value_kind:     hidden_block_count_y
      - .offset:         32
        .size:           4
        .value_kind:     hidden_block_count_z
      - .offset:         36
        .size:           2
        .value_kind:     hidden_group_size_x
      - .offset:         38
        .size:           2
        .value_kind:     hidden_group_size_y
      - .offset:         40
        .size:           2
        .value_kind:     hidden_group_size_z
      - .offset:         42
        .size:           2
        .value_kind:     hidden_remainder_x
      - .offset:         44
        .size:           2
        .value_kind:     hidden_remainder_y
      - .offset:         46
        .size:           2
        .value_kind:     hidden_remainder_z
      - .offset:         64
        .size:           8
        .value_kind:     hidden_global_offset_x
      - .offset:         72
        .size:           8
        .value_kind:     hidden_global_offset_y
      - .offset:         80
        .size:           8
        .value_kind:     hidden_global_offset_z
      - .offset:         88
        .size:           2
        .value_kind:     hidden_grid_dims
    .group_segment_fixed_size: 0
    .kernarg_segment_align: 8
    .kernarg_segment_size: 280
    .language:       OpenCL C
    .language_version:
      - 2
      - 0
    .max_flat_workgroup_size: 1024
    .name:           _Z10add_kernelIfEvPKT_S2_PS0_
    .private_segment_fixed_size: 0
    .sgpr_count:     10
    .sgpr_spill_count: 0
    .symbol:         _Z10add_kernelIfEvPKT_S2_PS0_.kd
    .uniform_work_group_size: 1
    .uses_dynamic_stack: false
    .vgpr_count:     3
    .vgpr_spill_count: 0
    .wavefront_size: 32
  - .args:
      - .actual_access:  write_only
        .address_space:  global
        .offset:         0
        .size:           8
        .value_kind:     global_buffer
      - .actual_access:  read_only
        .address_space:  global
        .offset:         8
        .size:           8
        .value_kind:     global_buffer
      - .actual_access:  read_only
        .address_space:  global
        .offset:         16
        .size:           8
        .value_kind:     global_buffer
      - .offset:         24
        .size:           4
        .value_kind:     hidden_block_count_x
      - .offset:         28
        .size:           4
        .value_kind:     hidden_block_count_y
      - .offset:         32
        .size:           4
        .value_kind:     hidden_block_count_z
      - .offset:         36
        .size:           2
        .value_kind:     hidden_group_size_x
      - .offset:         38
        .size:           2
        .value_kind:     hidden_group_size_y
      - .offset:         40
        .size:           2
        .value_kind:     hidden_group_size_z
      - .offset:         42
        .size:           2
        .value_kind:     hidden_remainder_x
      - .offset:         44
        .size:           2
        .value_kind:     hidden_remainder_y
      - .offset:         46
        .size:           2
        .value_kind:     hidden_remainder_z
      - .offset:         64
        .size:           8
        .value_kind:     hidden_global_offset_x
      - .offset:         72
        .size:           8
        .value_kind:     hidden_global_offset_y
      - .offset:         80
        .size:           8
        .value_kind:     hidden_global_offset_z
      - .offset:         88
        .size:           2
        .value_kind:     hidden_grid_dims
    .group_segment_fixed_size: 0
    .kernarg_segment_align: 8
    .kernarg_segment_size: 280
    .language:       OpenCL C
    .language_version:
      - 2
      - 0
    .max_flat_workgroup_size: 1024
    .name:           _Z12triad_kernelIfEvPT_PKS0_S3_
    .private_segment_fixed_size: 0
    .sgpr_count:     11
    .sgpr_spill_count: 0
    .symbol:         _Z12triad_kernelIfEvPT_PKS0_S3_.kd
    .uniform_work_group_size: 1
    .uses_dynamic_stack: false
    .vgpr_count:     3
    .vgpr_spill_count: 0
    .wavefront_size: 32
  - .args:
      - .actual_access:  read_only
        .address_space:  global
        .offset:         0
        .size:           8
        .value_kind:     global_buffer
      - .actual_access:  read_only
        .address_space:  global
        .offset:         8
        .size:           8
        .value_kind:     global_buffer
      - .actual_access:  write_only
        .address_space:  global
        .offset:         16
        .size:           8
        .value_kind:     global_buffer
      - .offset:         24
        .size:           4
        .value_kind:     by_value
      - .offset:         32
        .size:           4
        .value_kind:     hidden_block_count_x
      - .offset:         36
        .size:           4
        .value_kind:     hidden_block_count_y
      - .offset:         40
        .size:           4
        .value_kind:     hidden_block_count_z
      - .offset:         44
        .size:           2
        .value_kind:     hidden_group_size_x
      - .offset:         46
        .size:           2
        .value_kind:     hidden_group_size_y
      - .offset:         48
        .size:           2
        .value_kind:     hidden_group_size_z
      - .offset:         50
        .size:           2
        .value_kind:     hidden_remainder_x
      - .offset:         52
        .size:           2
        .value_kind:     hidden_remainder_y
      - .offset:         54
        .size:           2
        .value_kind:     hidden_remainder_z
      - .offset:         72
        .size:           8
        .value_kind:     hidden_global_offset_x
      - .offset:         80
        .size:           8
        .value_kind:     hidden_global_offset_y
      - .offset:         88
        .size:           8
        .value_kind:     hidden_global_offset_z
      - .offset:         96
        .size:           2
        .value_kind:     hidden_grid_dims
    .group_segment_fixed_size: 1024
    .kernarg_segment_align: 8
    .kernarg_segment_size: 288
    .language:       OpenCL C
    .language_version:
      - 2
      - 0
    .max_flat_workgroup_size: 1024
    .name:           _Z10dot_kernelIfEvPKT_S2_PS0_i
    .private_segment_fixed_size: 0
    .sgpr_count:     18
    .sgpr_spill_count: 0
    .symbol:         _Z10dot_kernelIfEvPKT_S2_PS0_i.kd
    .uniform_work_group_size: 1
    .uses_dynamic_stack: false
    .vgpr_count:     6
    .vgpr_spill_count: 0
    .wavefront_size: 32
  - .args:
      - .address_space:  global
        .offset:         0
        .size:           8
        .value_kind:     global_buffer
      - .actual_access:  read_only
        .address_space:  global
        .offset:         8
        .size:           8
        .value_kind:     global_buffer
      - .actual_access:  read_only
        .address_space:  global
        .offset:         16
        .size:           8
        .value_kind:     global_buffer
      - .offset:         24
        .size:           4
        .value_kind:     hidden_block_count_x
      - .offset:         28
        .size:           4
        .value_kind:     hidden_block_count_y
      - .offset:         32
        .size:           4
        .value_kind:     hidden_block_count_z
      - .offset:         36
        .size:           2
        .value_kind:     hidden_group_size_x
      - .offset:         38
        .size:           2
        .value_kind:     hidden_group_size_y
      - .offset:         40
        .size:           2
        .value_kind:     hidden_group_size_z
      - .offset:         42
        .size:           2
        .value_kind:     hidden_remainder_x
      - .offset:         44
        .size:           2
        .value_kind:     hidden_remainder_y
      - .offset:         46
        .size:           2
        .value_kind:     hidden_remainder_z
      - .offset:         64
        .size:           8
        .value_kind:     hidden_global_offset_x
      - .offset:         72
        .size:           8
        .value_kind:     hidden_global_offset_y
      - .offset:         80
        .size:           8
        .value_kind:     hidden_global_offset_z
      - .offset:         88
        .size:           2
        .value_kind:     hidden_grid_dims
    .group_segment_fixed_size: 0
    .kernarg_segment_align: 8
    .kernarg_segment_size: 280
    .language:       OpenCL C
    .language_version:
      - 2
      - 0
    .max_flat_workgroup_size: 1024
    .name:           _Z14nstream_kernelIfEvPT_PKS0_S3_
    .private_segment_fixed_size: 0
    .sgpr_count:     10
    .sgpr_spill_count: 0
    .symbol:         _Z14nstream_kernelIfEvPT_PKS0_S3_.kd
    .uniform_work_group_size: 1
    .uses_dynamic_stack: false
    .vgpr_count:     4
    .vgpr_spill_count: 0
    .wavefront_size: 32
  - .args:
      - .actual_access:  write_only
        .address_space:  global
        .offset:         0
        .size:           8
        .value_kind:     global_buffer
      - .actual_access:  write_only
        .address_space:  global
        .offset:         8
        .size:           8
        .value_kind:     global_buffer
      - .actual_access:  write_only
        .address_space:  global
        .offset:         16
        .size:           8
        .value_kind:     global_buffer
      - .offset:         24
        .size:           8
        .value_kind:     by_value
      - .offset:         32
        .size:           8
        .value_kind:     by_value
      - .offset:         40
        .size:           8
        .value_kind:     by_value
      - .offset:         48
        .size:           4
        .value_kind:     hidden_block_count_x
      - .offset:         52
        .size:           4
        .value_kind:     hidden_block_count_y
      - .offset:         56
        .size:           4
        .value_kind:     hidden_block_count_z
      - .offset:         60
        .size:           2
        .value_kind:     hidden_group_size_x
      - .offset:         62
        .size:           2
        .value_kind:     hidden_group_size_y
      - .offset:         64
        .size:           2
        .value_kind:     hidden_group_size_z
      - .offset:         66
        .size:           2
        .value_kind:     hidden_remainder_x
      - .offset:         68
        .size:           2
        .value_kind:     hidden_remainder_y
      - .offset:         70
        .size:           2
        .value_kind:     hidden_remainder_z
      - .offset:         88
        .size:           8
        .value_kind:     hidden_global_offset_x
      - .offset:         96
        .size:           8
        .value_kind:     hidden_global_offset_y
      - .offset:         104
        .size:           8
        .value_kind:     hidden_global_offset_z
      - .offset:         112
        .size:           2
        .value_kind:     hidden_grid_dims
    .group_segment_fixed_size: 0
    .kernarg_segment_align: 8
    .kernarg_segment_size: 304
    .language:       OpenCL C
    .language_version:
      - 2
      - 0
    .max_flat_workgroup_size: 1024
    .name:           _Z11init_kernelIdEvPT_S1_S1_S0_S0_S0_
    .private_segment_fixed_size: 0
    .sgpr_count:     16
    .sgpr_spill_count: 0
    .symbol:         _Z11init_kernelIdEvPT_S1_S1_S0_S0_S0_.kd
    .uniform_work_group_size: 1
    .uses_dynamic_stack: false
    .vgpr_count:     7
    .vgpr_spill_count: 0
    .wavefront_size: 32
  - .args:
      - .actual_access:  read_only
        .address_space:  global
        .offset:         0
        .size:           8
        .value_kind:     global_buffer
      - .actual_access:  write_only
        .address_space:  global
        .offset:         8
        .size:           8
        .value_kind:     global_buffer
      - .offset:         16
        .size:           4
        .value_kind:     hidden_block_count_x
      - .offset:         20
        .size:           4
        .value_kind:     hidden_block_count_y
      - .offset:         24
        .size:           4
        .value_kind:     hidden_block_count_z
      - .offset:         28
        .size:           2
        .value_kind:     hidden_group_size_x
      - .offset:         30
        .size:           2
        .value_kind:     hidden_group_size_y
      - .offset:         32
        .size:           2
        .value_kind:     hidden_group_size_z
      - .offset:         34
        .size:           2
        .value_kind:     hidden_remainder_x
      - .offset:         36
        .size:           2
        .value_kind:     hidden_remainder_y
      - .offset:         38
        .size:           2
        .value_kind:     hidden_remainder_z
      - .offset:         56
        .size:           8
        .value_kind:     hidden_global_offset_x
      - .offset:         64
        .size:           8
        .value_kind:     hidden_global_offset_y
      - .offset:         72
        .size:           8
        .value_kind:     hidden_global_offset_z
      - .offset:         80
        .size:           2
        .value_kind:     hidden_grid_dims
    .group_segment_fixed_size: 0
    .kernarg_segment_align: 8
    .kernarg_segment_size: 272
    .language:       OpenCL C
    .language_version:
      - 2
      - 0
    .max_flat_workgroup_size: 1024
    .name:           _Z11copy_kernelIdEvPKT_PS0_
    .private_segment_fixed_size: 0
    .sgpr_count:     8
    .sgpr_spill_count: 0
    .symbol:         _Z11copy_kernelIdEvPKT_PS0_.kd
    .uniform_work_group_size: 1
    .uses_dynamic_stack: false
    .vgpr_count:     3
    .vgpr_spill_count: 0
    .wavefront_size: 32
  - .args:
      - .actual_access:  write_only
        .address_space:  global
        .offset:         0
        .size:           8
        .value_kind:     global_buffer
      - .actual_access:  read_only
        .address_space:  global
        .offset:         8
        .size:           8
        .value_kind:     global_buffer
      - .offset:         16
        .size:           4
        .value_kind:     hidden_block_count_x
      - .offset:         20
        .size:           4
        .value_kind:     hidden_block_count_y
      - .offset:         24
        .size:           4
        .value_kind:     hidden_block_count_z
      - .offset:         28
        .size:           2
        .value_kind:     hidden_group_size_x
      - .offset:         30
        .size:           2
        .value_kind:     hidden_group_size_y
      - .offset:         32
        .size:           2
        .value_kind:     hidden_group_size_z
      - .offset:         34
        .size:           2
        .value_kind:     hidden_remainder_x
      - .offset:         36
        .size:           2
        .value_kind:     hidden_remainder_y
      - .offset:         38
        .size:           2
        .value_kind:     hidden_remainder_z
      - .offset:         56
        .size:           8
        .value_kind:     hidden_global_offset_x
      - .offset:         64
        .size:           8
        .value_kind:     hidden_global_offset_y
      - .offset:         72
        .size:           8
        .value_kind:     hidden_global_offset_z
      - .offset:         80
        .size:           2
        .value_kind:     hidden_grid_dims
    .group_segment_fixed_size: 0
    .kernarg_segment_align: 8
    .kernarg_segment_size: 272
    .language:       OpenCL C
    .language_version:
      - 2
      - 0
    .max_flat_workgroup_size: 1024
    .name:           _Z10mul_kernelIdEvPT_PKS0_
    .private_segment_fixed_size: 0
    .sgpr_count:     8
    .sgpr_spill_count: 0
    .symbol:         _Z10mul_kernelIdEvPT_PKS0_.kd
    .uniform_work_group_size: 1
    .uses_dynamic_stack: false
    .vgpr_count:     3
    .vgpr_spill_count: 0
    .wavefront_size: 32
  - .args:
      - .actual_access:  read_only
        .address_space:  global
        .offset:         0
        .size:           8
        .value_kind:     global_buffer
      - .actual_access:  read_only
        .address_space:  global
        .offset:         8
        .size:           8
        .value_kind:     global_buffer
      - .actual_access:  write_only
        .address_space:  global
        .offset:         16
        .size:           8
        .value_kind:     global_buffer
      - .offset:         24
        .size:           4
        .value_kind:     hidden_block_count_x
      - .offset:         28
        .size:           4
        .value_kind:     hidden_block_count_y
      - .offset:         32
        .size:           4
        .value_kind:     hidden_block_count_z
      - .offset:         36
        .size:           2
        .value_kind:     hidden_group_size_x
      - .offset:         38
        .size:           2
        .value_kind:     hidden_group_size_y
      - .offset:         40
        .size:           2
        .value_kind:     hidden_group_size_z
      - .offset:         42
        .size:           2
        .value_kind:     hidden_remainder_x
      - .offset:         44
        .size:           2
        .value_kind:     hidden_remainder_y
      - .offset:         46
        .size:           2
        .value_kind:     hidden_remainder_z
      - .offset:         64
        .size:           8
        .value_kind:     hidden_global_offset_x
      - .offset:         72
        .size:           8
        .value_kind:     hidden_global_offset_y
      - .offset:         80
        .size:           8
        .value_kind:     hidden_global_offset_z
      - .offset:         88
        .size:           2
        .value_kind:     hidden_grid_dims
    .group_segment_fixed_size: 0
    .kernarg_segment_align: 8
    .kernarg_segment_size: 280
    .language:       OpenCL C
    .language_version:
      - 2
      - 0
    .max_flat_workgroup_size: 1024
    .name:           _Z10add_kernelIdEvPKT_S2_PS0_
    .private_segment_fixed_size: 0
    .sgpr_count:     10
    .sgpr_spill_count: 0
    .symbol:         _Z10add_kernelIdEvPKT_S2_PS0_.kd
    .uniform_work_group_size: 1
    .uses_dynamic_stack: false
    .vgpr_count:     5
    .vgpr_spill_count: 0
    .wavefront_size: 32
  - .args:
      - .actual_access:  write_only
        .address_space:  global
        .offset:         0
        .size:           8
        .value_kind:     global_buffer
      - .actual_access:  read_only
        .address_space:  global
        .offset:         8
        .size:           8
        .value_kind:     global_buffer
      - .actual_access:  read_only
        .address_space:  global
        .offset:         16
        .size:           8
        .value_kind:     global_buffer
      - .offset:         24
        .size:           4
        .value_kind:     hidden_block_count_x
      - .offset:         28
        .size:           4
        .value_kind:     hidden_block_count_y
      - .offset:         32
        .size:           4
        .value_kind:     hidden_block_count_z
      - .offset:         36
        .size:           2
        .value_kind:     hidden_group_size_x
      - .offset:         38
        .size:           2
        .value_kind:     hidden_group_size_y
      - .offset:         40
        .size:           2
        .value_kind:     hidden_group_size_z
      - .offset:         42
        .size:           2
        .value_kind:     hidden_remainder_x
      - .offset:         44
        .size:           2
        .value_kind:     hidden_remainder_y
      - .offset:         46
        .size:           2
        .value_kind:     hidden_remainder_z
      - .offset:         64
        .size:           8
        .value_kind:     hidden_global_offset_x
      - .offset:         72
        .size:           8
        .value_kind:     hidden_global_offset_y
      - .offset:         80
        .size:           8
        .value_kind:     hidden_global_offset_z
      - .offset:         88
        .size:           2
        .value_kind:     hidden_grid_dims
    .group_segment_fixed_size: 0
    .kernarg_segment_align: 8
    .kernarg_segment_size: 280
    .language:       OpenCL C
    .language_version:
      - 2
      - 0
    .max_flat_workgroup_size: 1024
    .name:           _Z12triad_kernelIdEvPT_PKS0_S3_
    .private_segment_fixed_size: 0
    .sgpr_count:     11
    .sgpr_spill_count: 0
    .symbol:         _Z12triad_kernelIdEvPT_PKS0_S3_.kd
    .uniform_work_group_size: 1
    .uses_dynamic_stack: false
    .vgpr_count:     5
    .vgpr_spill_count: 0
    .wavefront_size: 32
  - .args:
      - .actual_access:  read_only
        .address_space:  global
        .offset:         0
        .size:           8
        .value_kind:     global_buffer
      - .actual_access:  read_only
        .address_space:  global
        .offset:         8
        .size:           8
        .value_kind:     global_buffer
      - .actual_access:  write_only
        .address_space:  global
        .offset:         16
        .size:           8
        .value_kind:     global_buffer
      - .offset:         24
        .size:           4
        .value_kind:     by_value
      - .offset:         32
        .size:           4
        .value_kind:     hidden_block_count_x
      - .offset:         36
        .size:           4
        .value_kind:     hidden_block_count_y
      - .offset:         40
        .size:           4
        .value_kind:     hidden_block_count_z
      - .offset:         44
        .size:           2
        .value_kind:     hidden_group_size_x
      - .offset:         46
        .size:           2
        .value_kind:     hidden_group_size_y
      - .offset:         48
        .size:           2
        .value_kind:     hidden_group_size_z
      - .offset:         50
        .size:           2
        .value_kind:     hidden_remainder_x
      - .offset:         52
        .size:           2
        .value_kind:     hidden_remainder_y
      - .offset:         54
        .size:           2
        .value_kind:     hidden_remainder_z
      - .offset:         72
        .size:           8
        .value_kind:     hidden_global_offset_x
      - .offset:         80
        .size:           8
        .value_kind:     hidden_global_offset_y
      - .offset:         88
        .size:           8
        .value_kind:     hidden_global_offset_z
      - .offset:         96
        .size:           2
        .value_kind:     hidden_grid_dims
    .group_segment_fixed_size: 2048
    .kernarg_segment_align: 8
    .kernarg_segment_size: 288
    .language:       OpenCL C
    .language_version:
      - 2
      - 0
    .max_flat_workgroup_size: 1024
    .name:           _Z10dot_kernelIdEvPKT_S2_PS0_i
    .private_segment_fixed_size: 0
    .sgpr_count:     18
    .sgpr_spill_count: 0
    .symbol:         _Z10dot_kernelIdEvPKT_S2_PS0_i.kd
    .uniform_work_group_size: 1
    .uses_dynamic_stack: false
    .vgpr_count:     10
    .vgpr_spill_count: 0
    .wavefront_size: 32
  - .args:
      - .address_space:  global
        .offset:         0
        .size:           8
        .value_kind:     global_buffer
      - .actual_access:  read_only
        .address_space:  global
        .offset:         8
        .size:           8
        .value_kind:     global_buffer
      - .actual_access:  read_only
        .address_space:  global
        .offset:         16
        .size:           8
        .value_kind:     global_buffer
      - .offset:         24
        .size:           4
        .value_kind:     hidden_block_count_x
      - .offset:         28
        .size:           4
        .value_kind:     hidden_block_count_y
      - .offset:         32
        .size:           4
        .value_kind:     hidden_block_count_z
      - .offset:         36
        .size:           2
        .value_kind:     hidden_group_size_x
      - .offset:         38
        .size:           2
        .value_kind:     hidden_group_size_y
      - .offset:         40
        .size:           2
        .value_kind:     hidden_group_size_z
      - .offset:         42
        .size:           2
        .value_kind:     hidden_remainder_x
      - .offset:         44
        .size:           2
        .value_kind:     hidden_remainder_y
      - .offset:         46
        .size:           2
        .value_kind:     hidden_remainder_z
      - .offset:         64
        .size:           8
        .value_kind:     hidden_global_offset_x
      - .offset:         72
        .size:           8
        .value_kind:     hidden_global_offset_y
      - .offset:         80
        .size:           8
        .value_kind:     hidden_global_offset_z
      - .offset:         88
        .size:           2
        .value_kind:     hidden_grid_dims
    .group_segment_fixed_size: 0
    .kernarg_segment_align: 8
    .kernarg_segment_size: 280
    .language:       OpenCL C
    .language_version:
      - 2
      - 0
    .max_flat_workgroup_size: 1024
    .name:           _Z14nstream_kernelIdEvPT_PKS0_S3_
    .private_segment_fixed_size: 0
    .sgpr_count:     10
    .sgpr_spill_count: 0
    .symbol:         _Z14nstream_kernelIdEvPT_PKS0_S3_.kd
    .uniform_work_group_size: 1
    .uses_dynamic_stack: false
    .vgpr_count:     7
    .vgpr_spill_count: 0
    .wavefront_size: 32
amdhsa.target:   amdgcn-amd-amdhsa--gfx1250
amdhsa.version:
  - 1
  - 2
...

	.end_amdgpu_metadata
